;; amdgpu-corpus repo=ROCm/rocFFT kind=compiled arch=gfx950 opt=O3
	.text
	.amdgcn_target "amdgcn-amd-amdhsa--gfx950"
	.amdhsa_code_object_version 6
	.protected	fft_rtc_fwd_len1360_factors_17_5_16_wgs_255_tpt_85_halfLds_sp_ip_CI_unitstride_sbrr_R2C_dirReg ; -- Begin function fft_rtc_fwd_len1360_factors_17_5_16_wgs_255_tpt_85_halfLds_sp_ip_CI_unitstride_sbrr_R2C_dirReg
	.globl	fft_rtc_fwd_len1360_factors_17_5_16_wgs_255_tpt_85_halfLds_sp_ip_CI_unitstride_sbrr_R2C_dirReg
	.p2align	8
	.type	fft_rtc_fwd_len1360_factors_17_5_16_wgs_255_tpt_85_halfLds_sp_ip_CI_unitstride_sbrr_R2C_dirReg,@function
fft_rtc_fwd_len1360_factors_17_5_16_wgs_255_tpt_85_halfLds_sp_ip_CI_unitstride_sbrr_R2C_dirReg: ; @fft_rtc_fwd_len1360_factors_17_5_16_wgs_255_tpt_85_halfLds_sp_ip_CI_unitstride_sbrr_R2C_dirReg
; %bb.0:
	s_load_dwordx2 s[8:9], s[0:1], 0x50
	s_load_dwordx4 s[4:7], s[0:1], 0x0
	s_load_dwordx2 s[10:11], s[0:1], 0x18
	v_mul_u32_u24_e32 v1, 0x304, v0
	v_lshrrev_b32_e32 v2, 16, v1
	v_mad_u64_u32 v[2:3], s[2:3], s2, 3, v[2:3]
	v_mov_b32_e32 v6, 0
	v_mov_b32_e32 v3, v6
	s_waitcnt lgkmcnt(0)
	v_cmp_lt_u64_e64 s[2:3], s[6:7], 2
	s_and_b64 vcc, exec, s[2:3]
	v_mov_b64_e32 v[4:5], 0
	v_mov_b64_e32 v[10:11], v[2:3]
	s_cbranch_vccnz .LBB0_8
; %bb.1:
	s_load_dwordx2 s[2:3], s[0:1], 0x10
	s_add_u32 s12, s10, 8
	s_addc_u32 s13, s11, 0
	s_mov_b64 s[14:15], 1
	v_mov_b64_e32 v[4:5], 0
	s_waitcnt lgkmcnt(0)
	s_add_u32 s16, s2, 8
	s_addc_u32 s17, s3, 0
	v_mov_b64_e32 v[8:9], v[2:3]
.LBB0_2:                                ; =>This Inner Loop Header: Depth=1
	s_load_dwordx2 s[18:19], s[16:17], 0x0
                                        ; implicit-def: $vgpr10_vgpr11
	s_waitcnt lgkmcnt(0)
	v_or_b32_e32 v7, s19, v9
	v_cmp_ne_u64_e32 vcc, 0, v[6:7]
	s_and_saveexec_b64 s[2:3], vcc
	s_xor_b64 s[20:21], exec, s[2:3]
	s_cbranch_execz .LBB0_4
; %bb.3:                                ;   in Loop: Header=BB0_2 Depth=1
	v_cvt_f32_u32_e32 v1, s18
	v_cvt_f32_u32_e32 v3, s19
	s_sub_u32 s2, 0, s18
	s_subb_u32 s3, 0, s19
	v_fmac_f32_e32 v1, 0x4f800000, v3
	v_rcp_f32_e32 v1, v1
	s_nop 0
	v_mul_f32_e32 v1, 0x5f7ffffc, v1
	v_mul_f32_e32 v3, 0x2f800000, v1
	v_trunc_f32_e32 v3, v3
	v_fmac_f32_e32 v1, 0xcf800000, v3
	v_cvt_u32_f32_e32 v3, v3
	v_cvt_u32_f32_e32 v1, v1
	v_mul_lo_u32 v7, s2, v3
	v_mul_hi_u32 v10, s2, v1
	v_mul_lo_u32 v11, s3, v1
	v_add_u32_e32 v7, v10, v7
	v_mul_lo_u32 v14, s2, v1
	v_add_u32_e32 v7, v7, v11
	v_mul_hi_u32 v10, v1, v14
	v_mul_hi_u32 v13, v1, v7
	v_mul_lo_u32 v12, v1, v7
	v_mov_b32_e32 v11, v6
	v_lshl_add_u64 v[10:11], v[10:11], 0, v[12:13]
	v_mul_hi_u32 v13, v3, v14
	v_mul_lo_u32 v14, v3, v14
	v_add_co_u32_e32 v10, vcc, v10, v14
	v_mul_hi_u32 v12, v3, v7
	s_nop 0
	v_addc_co_u32_e32 v10, vcc, v11, v13, vcc
	v_mov_b32_e32 v11, v6
	s_nop 0
	v_addc_co_u32_e32 v13, vcc, 0, v12, vcc
	v_mul_lo_u32 v12, v3, v7
	v_lshl_add_u64 v[10:11], v[10:11], 0, v[12:13]
	v_add_co_u32_e32 v1, vcc, v1, v10
	v_mul_hi_u32 v10, s2, v1
	s_nop 0
	v_addc_co_u32_e32 v3, vcc, v3, v11, vcc
	v_mul_lo_u32 v7, s2, v3
	v_add_u32_e32 v7, v10, v7
	v_mul_lo_u32 v10, s3, v1
	v_add_u32_e32 v7, v7, v10
	v_mul_lo_u32 v12, s2, v1
	v_mul_hi_u32 v15, v3, v12
	v_mul_lo_u32 v16, v3, v12
	v_mul_hi_u32 v11, v1, v7
	;; [unrolled: 2-line block ×3, first 2 shown]
	v_mov_b32_e32 v13, v6
	v_lshl_add_u64 v[10:11], v[12:13], 0, v[10:11]
	v_add_co_u32_e32 v10, vcc, v10, v16
	v_mul_hi_u32 v14, v3, v7
	s_nop 0
	v_addc_co_u32_e32 v10, vcc, v11, v15, vcc
	v_mul_lo_u32 v12, v3, v7
	s_nop 0
	v_addc_co_u32_e32 v13, vcc, 0, v14, vcc
	v_mov_b32_e32 v11, v6
	v_lshl_add_u64 v[10:11], v[10:11], 0, v[12:13]
	v_add_co_u32_e32 v1, vcc, v1, v10
	v_mul_hi_u32 v12, v8, v1
	s_nop 0
	v_addc_co_u32_e32 v3, vcc, v3, v11, vcc
	v_mad_u64_u32 v[10:11], s[2:3], v8, v3, 0
	v_mov_b32_e32 v13, v6
	v_lshl_add_u64 v[10:11], v[12:13], 0, v[10:11]
	v_mad_u64_u32 v[14:15], s[2:3], v9, v1, 0
	v_add_co_u32_e32 v1, vcc, v10, v14
	v_mad_u64_u32 v[12:13], s[2:3], v9, v3, 0
	s_nop 0
	v_addc_co_u32_e32 v10, vcc, v11, v15, vcc
	v_mov_b32_e32 v11, v6
	s_nop 0
	v_addc_co_u32_e32 v13, vcc, 0, v13, vcc
	v_lshl_add_u64 v[10:11], v[10:11], 0, v[12:13]
	v_mul_lo_u32 v1, s19, v10
	v_mul_lo_u32 v3, s18, v11
	v_mad_u64_u32 v[12:13], s[2:3], s18, v10, 0
	v_add3_u32 v1, v13, v3, v1
	v_sub_u32_e32 v3, v9, v1
	v_mov_b32_e32 v7, s19
	v_sub_co_u32_e32 v16, vcc, v8, v12
	v_lshl_add_u64 v[14:15], v[10:11], 0, 1
	s_nop 0
	v_subb_co_u32_e64 v3, s[2:3], v3, v7, vcc
	v_subrev_co_u32_e64 v7, s[2:3], s18, v16
	v_subb_co_u32_e32 v1, vcc, v9, v1, vcc
	s_nop 0
	v_subbrev_co_u32_e64 v3, s[2:3], 0, v3, s[2:3]
	v_cmp_le_u32_e64 s[2:3], s19, v3
	v_cmp_le_u32_e32 vcc, s19, v1
	s_nop 0
	v_cndmask_b32_e64 v12, 0, -1, s[2:3]
	v_cmp_le_u32_e64 s[2:3], s18, v7
	s_nop 1
	v_cndmask_b32_e64 v7, 0, -1, s[2:3]
	v_cmp_eq_u32_e64 s[2:3], s19, v3
	s_nop 1
	v_cndmask_b32_e64 v3, v12, v7, s[2:3]
	v_lshl_add_u64 v[12:13], v[10:11], 0, 2
	v_cmp_ne_u32_e64 s[2:3], 0, v3
	v_cndmask_b32_e64 v7, 0, -1, vcc
	v_cmp_le_u32_e32 vcc, s18, v16
	v_cndmask_b32_e64 v3, v15, v13, s[2:3]
	s_nop 0
	v_cndmask_b32_e64 v13, 0, -1, vcc
	v_cmp_eq_u32_e32 vcc, s19, v1
	s_nop 1
	v_cndmask_b32_e32 v1, v7, v13, vcc
	v_cmp_ne_u32_e32 vcc, 0, v1
	v_cndmask_b32_e64 v1, v14, v12, s[2:3]
	s_nop 0
	v_cndmask_b32_e32 v11, v11, v3, vcc
	v_cndmask_b32_e32 v10, v10, v1, vcc
.LBB0_4:                                ;   in Loop: Header=BB0_2 Depth=1
	s_andn2_saveexec_b64 s[2:3], s[20:21]
	s_cbranch_execz .LBB0_6
; %bb.5:                                ;   in Loop: Header=BB0_2 Depth=1
	v_cvt_f32_u32_e32 v1, s18
	s_sub_i32 s20, 0, s18
	v_mov_b32_e32 v11, v6
	v_rcp_iflag_f32_e32 v1, v1
	s_nop 0
	v_mul_f32_e32 v1, 0x4f7ffffe, v1
	v_cvt_u32_f32_e32 v1, v1
	v_mul_lo_u32 v3, s20, v1
	v_mul_hi_u32 v3, v1, v3
	v_add_u32_e32 v1, v1, v3
	v_mul_hi_u32 v1, v8, v1
	v_mul_lo_u32 v3, v1, s18
	v_sub_u32_e32 v3, v8, v3
	v_add_u32_e32 v7, 1, v1
	v_subrev_u32_e32 v10, s18, v3
	v_cmp_le_u32_e32 vcc, s18, v3
	s_nop 1
	v_cndmask_b32_e32 v3, v3, v10, vcc
	v_cndmask_b32_e32 v1, v1, v7, vcc
	v_add_u32_e32 v7, 1, v1
	v_cmp_le_u32_e32 vcc, s18, v3
	s_nop 1
	v_cndmask_b32_e32 v10, v1, v7, vcc
.LBB0_6:                                ;   in Loop: Header=BB0_2 Depth=1
	s_or_b64 exec, exec, s[2:3]
	v_mad_u64_u32 v[12:13], s[2:3], v10, s18, 0
	s_load_dwordx2 s[2:3], s[12:13], 0x0
	s_add_u32 s14, s14, 1
	v_mul_lo_u32 v1, v11, s18
	v_mul_lo_u32 v3, v10, s19
	s_addc_u32 s15, s15, 0
	v_add3_u32 v1, v13, v3, v1
	v_sub_co_u32_e32 v3, vcc, v8, v12
	s_add_u32 s12, s12, 8
	s_nop 0
	v_subb_co_u32_e32 v1, vcc, v9, v1, vcc
	s_addc_u32 s13, s13, 0
	v_mov_b64_e32 v[8:9], s[6:7]
	s_waitcnt lgkmcnt(0)
	v_mul_lo_u32 v1, s2, v1
	v_mul_lo_u32 v7, s3, v3
	v_mad_u64_u32 v[4:5], s[2:3], s2, v3, v[4:5]
	s_add_u32 s16, s16, 8
	v_cmp_ge_u64_e32 vcc, s[14:15], v[8:9]
	v_add3_u32 v5, v7, v5, v1
	s_addc_u32 s17, s17, 0
	s_cbranch_vccnz .LBB0_8
; %bb.7:                                ;   in Loop: Header=BB0_2 Depth=1
	v_mov_b64_e32 v[8:9], v[10:11]
	s_branch .LBB0_2
.LBB0_8:
	s_lshl_b64 s[2:3], s[6:7], 3
	s_add_u32 s2, s10, s2
	s_addc_u32 s3, s11, s3
	s_load_dwordx2 s[6:7], s[2:3], 0x0
	s_load_dwordx2 s[10:11], s[0:1], 0x20
	s_mov_b32 s2, 0x3030304
	s_waitcnt lgkmcnt(0)
	v_mad_u64_u32 v[4:5], s[0:1], s6, v10, v[4:5]
	v_mul_lo_u32 v1, s6, v11
	v_mul_lo_u32 v3, s7, v10
	s_mov_b32 s0, 0xaaaaaaab
	v_add3_u32 v5, v3, v5, v1
	v_mul_hi_u32 v1, v2, s0
	v_lshrrev_b32_e32 v1, 1, v1
	v_lshl_add_u32 v1, v1, 1, v1
	v_sub_u32_e32 v1, v2, v1
	v_mul_hi_u32 v2, v0, s2
	v_mul_u32_u24_e32 v2, 0x55, v2
	v_mul_u32_u24_e32 v1, 0x551, v1
	v_sub_u32_e32 v34, v0, v2
	v_cmp_gt_u64_e64 s[0:1], s[10:11], v[10:11]
	v_lshl_add_u64 v[32:33], v[4:5], 3, s[8:9]
	v_lshlrev_b32_e32 v141, 3, v1
	v_lshlrev_b32_e32 v139, 3, v34
	s_and_saveexec_b64 s[2:3], s[0:1]
	s_cbranch_execz .LBB0_10
; %bb.9:
	v_mov_b32_e32 v35, 0
	v_lshl_add_u64 v[0:1], v[34:35], 3, v[32:33]
	s_movk_i32 s6, 0x1000
	v_add_co_u32_e32 v10, vcc, s6, v0
	global_load_dwordx2 v[2:3], v[0:1], off
	global_load_dwordx2 v[4:5], v[0:1], off offset:680
	global_load_dwordx2 v[6:7], v[0:1], off offset:1360
	;; [unrolled: 1-line block ×3, first 2 shown]
	v_addc_co_u32_e32 v11, vcc, 0, v1, vcc
	global_load_dwordx2 v[12:13], v[0:1], off offset:2720
	global_load_dwordx2 v[14:15], v[0:1], off offset:3400
	;; [unrolled: 1-line block ×8, first 2 shown]
	v_add_co_u32_e32 v0, vcc, 0x2000, v0
	s_nop 1
	v_addc_co_u32_e32 v1, vcc, 0, v1, vcc
	global_load_dwordx2 v[28:29], v[10:11], off offset:4064
	global_load_dwordx2 v[30:31], v[0:1], off offset:648
	global_load_dwordx2 v[36:37], v[0:1], off offset:1328
	global_load_dwordx2 v[38:39], v[0:1], off offset:2008
	v_add3_u32 v0, 0, v141, v139
	v_add_u32_e32 v1, 0x800, v0
	v_add_u32_e32 v10, 0xc00, v0
	;; [unrolled: 1-line block ×6, first 2 shown]
	s_waitcnt vmcnt(14)
	ds_write2_b64 v0, v[2:3], v[4:5] offset1:85
	s_waitcnt vmcnt(12)
	ds_write2_b64 v0, v[6:7], v[8:9] offset0:170 offset1:255
	s_waitcnt vmcnt(10)
	ds_write2_b64 v1, v[12:13], v[14:15] offset0:84 offset1:169
	;; [unrolled: 2-line block ×7, first 2 shown]
.LBB0_10:
	s_or_b64 exec, exec, s[2:3]
	v_add3_u32 v140, 0, v139, v141
	v_add_u32_e32 v0, 0x2400, v140
	s_waitcnt lgkmcnt(0)
	s_barrier
	ds_read2_b64 v[4:7], v140 offset0:80 offset1:160
	ds_read2_b64 v[0:3], v0 offset0:48 offset1:128
	v_add_u32_e32 v35, 0, v141
	v_add_u32_e32 v138, v35, v139
	;; [unrolled: 1-line block ×4, first 2 shown]
	ds_read_b64 v[40:41], v138
	ds_read2_b64 v[12:15], v8 offset0:112 offset1:192
	ds_read2_b64 v[8:11], v142 offset0:16 offset1:96
	s_waitcnt lgkmcnt(3)
	v_pk_add_f32 v[48:49], v[4:5], v[2:3] neg_lo:[0,1] neg_hi:[0,1]
	s_mov_b32 s16, 0xbeb8f4ab
	v_pk_add_f32 v[42:43], v[2:3], v[4:5]
	s_mov_b32 s12, 0x3f6eb680
	v_pk_mul_f32 v[16:17], v[48:49], s[16:17] op_sel_hi:[1,0]
	v_pk_add_f32 v[50:51], v[6:7], v[0:1] neg_lo:[0,1] neg_hi:[0,1]
	s_mov_b32 s30, 0xbf2c7751
	v_pk_fma_f32 v[74:75], v[42:43], s[12:13], v[16:17] op_sel:[0,0,1] op_sel_hi:[1,0,0] neg_lo:[0,0,1] neg_hi:[0,0,1]
	v_pk_fma_f32 v[76:77], v[42:43], s[12:13], v[16:17] op_sel:[0,0,1] op_sel_hi:[1,0,0]
	v_pk_add_f32 v[44:45], v[0:1], v[6:7]
	s_mov_b32 s10, 0x3f3d2fb0
	v_pk_mul_f32 v[18:19], v[50:51], s[30:31] op_sel_hi:[1,0]
	v_mov_b32_e32 v16, v76
	v_mov_b32_e32 v17, v75
	v_pk_fma_f32 v[78:79], v[44:45], s[10:11], v[18:19] op_sel:[0,0,1] op_sel_hi:[1,0,0] neg_lo:[0,0,1] neg_hi:[0,0,1]
	v_pk_fma_f32 v[80:81], v[44:45], s[10:11], v[18:19] op_sel:[0,0,1] op_sel_hi:[1,0,0]
	s_waitcnt lgkmcnt(2)
	v_pk_add_f32 v[16:17], v[40:41], v[16:17]
	v_mov_b32_e32 v18, v80
	v_mov_b32_e32 v19, v79
	s_waitcnt lgkmcnt(0)
	v_pk_add_f32 v[52:53], v[12:13], v[10:11] neg_lo:[0,1] neg_hi:[0,1]
	s_mov_b32 s42, 0xbf65296c
	s_mov_b32 s6, 0x3ee437d1
	v_pk_add_f32 v[16:17], v[18:19], v[16:17]
	v_pk_add_f32 v[46:47], v[10:11], v[12:13]
	v_pk_mul_f32 v[18:19], v[52:53], s[42:43] op_sel_hi:[1,0]
	v_pk_add_f32 v[56:57], v[14:15], v[8:9] neg_lo:[0,1] neg_hi:[0,1]
	v_pk_fma_f32 v[84:85], v[46:47], s[6:7], v[18:19] op_sel:[0,0,1] op_sel_hi:[1,0,0] neg_lo:[0,0,1] neg_hi:[0,0,1]
	v_pk_fma_f32 v[86:87], v[46:47], s[6:7], v[18:19] op_sel:[0,0,1] op_sel_hi:[1,0,0]
	v_mov_b32_e32 v19, v85
	v_mov_b32_e32 v18, v86
	s_mov_b32 s24, 0xbf7ee86f
	v_pk_add_f32 v[16:17], v[18:19], v[16:17]
	v_pk_add_f32 v[54:55], v[8:9], v[14:15]
	s_mov_b32 s8, 0x3dbcf732
	v_pk_mul_f32 v[18:19], v[56:57], s[24:25] op_sel_hi:[1,0]
	v_add_u32_e32 v144, 0x800, v140
	v_pk_fma_f32 v[90:91], v[54:55], s[8:9], v[18:19] op_sel:[0,0,1] op_sel_hi:[1,0,0] neg_lo:[0,0,1] neg_hi:[0,0,1]
	v_pk_fma_f32 v[92:93], v[54:55], s[8:9], v[18:19] op_sel:[0,0,1] op_sel_hi:[1,0,0]
	v_mov_b32_e32 v19, v91
	v_mov_b32_e32 v18, v92
	v_pk_add_f32 v[24:25], v[18:19], v[16:17]
	v_pk_mul_f32 v[16:17], v[48:49], s[30:31] op_sel_hi:[1,0]
	v_add_u32_e32 v143, 0x1800, v140
	v_pk_fma_f32 v[94:95], v[42:43], s[10:11], v[16:17] op_sel:[0,0,1] op_sel_hi:[1,0,0]
	v_pk_fma_f32 v[82:83], v[42:43], s[10:11], v[16:17] op_sel:[0,0,1] op_sel_hi:[1,0,0] neg_lo:[0,0,1] neg_hi:[0,0,1]
	v_mov_b32_e32 v16, v94
	v_mov_b32_e32 v17, v83
	v_pk_add_f32 v[26:27], v[40:41], v[16:17]
	v_pk_mul_f32 v[16:17], v[50:51], s[24:25] op_sel_hi:[1,0]
	s_mov_b32 s18, 0xbf763a35
	v_pk_fma_f32 v[98:99], v[44:45], s[8:9], v[16:17] op_sel:[0,0,1] op_sel_hi:[1,0,0]
	v_pk_fma_f32 v[88:89], v[44:45], s[8:9], v[16:17] op_sel:[0,0,1] op_sel_hi:[1,0,0] neg_lo:[0,0,1] neg_hi:[0,0,1]
	ds_read2_b64 v[20:23], v144 offset0:144 offset1:224
	ds_read2_b64 v[16:19], v143 offset0:112 offset1:192
	v_mov_b32_e32 v28, v98
	v_mov_b32_e32 v29, v89
	v_pk_add_f32 v[26:27], v[28:29], v[26:27]
	s_mov_b32 s14, 0xbe8c1d8e
	s_waitcnt lgkmcnt(0)
	v_pk_add_f32 v[60:61], v[20:21], v[18:19] neg_lo:[0,1] neg_hi:[0,1]
	v_pk_add_f32 v[58:59], v[18:19], v[20:21]
	v_pk_mul_f32 v[28:29], v[60:61], s[18:19] op_sel_hi:[1,0]
	s_mov_b32 s22, 0xbf4c4adb
	v_pk_fma_f32 v[102:103], v[58:59], s[14:15], v[28:29] op_sel:[0,0,1] op_sel_hi:[1,0,0] neg_lo:[0,0,1] neg_hi:[0,0,1]
	v_pk_fma_f32 v[104:105], v[58:59], s[14:15], v[28:29] op_sel:[0,0,1] op_sel_hi:[1,0,0]
	v_mov_b32_e32 v29, v103
	v_mov_b32_e32 v28, v104
	v_pk_add_f32 v[24:25], v[28:29], v[24:25]
	s_mov_b32 s20, 0xbf1a4643
	v_pk_mul_f32 v[28:29], v[52:53], s[22:23] op_sel_hi:[1,0]
	s_mov_b32 s34, 0xbe3c28d5
	v_pk_fma_f32 v[118:119], v[46:47], s[20:21], v[28:29] op_sel:[0,0,1] op_sel_hi:[1,0,0]
	v_pk_fma_f32 v[96:97], v[46:47], s[20:21], v[28:29] op_sel:[0,0,1] op_sel_hi:[1,0,0] neg_lo:[0,0,1] neg_hi:[0,0,1]
	v_mov_b32_e32 v28, v118
	v_mov_b32_e32 v29, v97
	v_pk_add_f32 v[26:27], v[28:29], v[26:27]
	s_mov_b32 s28, 0xbf7ba420
	v_pk_mul_f32 v[28:29], v[56:57], s[34:35] op_sel_hi:[1,0]
	s_mov_b32 s48, 0x3f06c442
	v_pk_fma_f32 v[124:125], v[54:55], s[28:29], v[28:29] op_sel:[0,0,1] op_sel_hi:[1,0,0]
	v_pk_fma_f32 v[100:101], v[54:55], s[28:29], v[28:29] op_sel:[0,0,1] op_sel_hi:[1,0,0] neg_lo:[0,0,1] neg_hi:[0,0,1]
	v_mov_b32_e32 v28, v124
	v_mov_b32_e32 v29, v101
	v_pk_add_f32 v[26:27], v[28:29], v[26:27]
	s_mov_b32 s26, 0xbf59a7d5
	v_pk_mul_f32 v[28:29], v[60:61], s[48:49] op_sel_hi:[1,0]
	v_pk_add_f32 v[64:65], v[22:23], v[16:17] neg_lo:[0,1] neg_hi:[0,1]
	v_pk_fma_f32 v[106:107], v[58:59], s[26:27], v[28:29] op_sel:[0,0,1] op_sel_hi:[1,0,0]
	v_pk_fma_f32 v[108:109], v[58:59], s[26:27], v[28:29] op_sel:[0,0,1] op_sel_hi:[1,0,0] neg_lo:[0,0,1] neg_hi:[0,0,1]
	v_mov_b32_e32 v28, v106
	v_mov_b32_e32 v29, v109
	v_pk_add_f32 v[36:37], v[28:29], v[26:27]
	v_pk_add_f32 v[62:63], v[16:17], v[22:23]
	v_pk_mul_f32 v[26:27], v[64:65], s[22:23] op_sel_hi:[1,0]
	s_mov_b32 s44, 0x3f763a35
	v_pk_fma_f32 v[114:115], v[62:63], s[20:21], v[26:27] op_sel:[0,0,1] op_sel_hi:[1,0,0] neg_lo:[0,0,1] neg_hi:[0,0,1]
	v_pk_fma_f32 v[116:117], v[62:63], s[20:21], v[26:27] op_sel:[0,0,1] op_sel_hi:[1,0,0]
	v_mov_b32_e32 v27, v115
	v_mov_b32_e32 v26, v116
	v_pk_add_f32 v[38:39], v[26:27], v[24:25]
	v_pk_mul_f32 v[24:25], v[64:65], s[44:45] op_sel_hi:[1,0]
	v_add_u32_e32 v145, 0x1000, v140
	v_pk_fma_f32 v[110:111], v[62:63], s[14:15], v[24:25] op_sel:[0,0,1] op_sel_hi:[1,0,0]
	v_pk_fma_f32 v[112:113], v[62:63], s[14:15], v[24:25] op_sel:[0,0,1] op_sel_hi:[1,0,0] neg_lo:[0,0,1] neg_hi:[0,0,1]
	v_add_u32_e32 v24, 0x1400, v140
	ds_read2_b64 v[24:27], v24 offset0:80 offset1:160
	ds_read2_b64 v[28:31], v145 offset0:48 offset1:128
	v_mov_b32_e32 v66, v110
	v_mov_b32_e32 v67, v113
	s_mov_b32 s38, 0xbf06c442
	v_pk_add_f32 v[36:37], v[66:67], v[36:37]
	s_waitcnt lgkmcnt(0)
	v_pk_add_f32 v[68:69], v[28:29], v[26:27] neg_lo:[0,1] neg_hi:[0,1]
	v_pk_add_f32 v[66:67], v[26:27], v[28:29]
	v_pk_mul_f32 v[70:71], v[68:69], s[38:39] op_sel_hi:[1,0]
	s_mov_b32 s36, 0x3f65296c
	v_pk_fma_f32 v[130:131], v[66:67], s[26:27], v[70:71] op_sel:[0,0,1] op_sel_hi:[1,0,0] neg_lo:[0,0,1] neg_hi:[0,0,1]
	v_pk_fma_f32 v[132:133], v[66:67], s[26:27], v[70:71] op_sel:[0,0,1] op_sel_hi:[1,0,0]
	v_mov_b32_e32 v71, v131
	v_mov_b32_e32 v70, v132
	v_pk_add_f32 v[38:39], v[70:71], v[38:39]
	v_pk_mul_f32 v[70:71], v[68:69], s[36:37] op_sel_hi:[1,0]
	v_pk_add_f32 v[72:73], v[30:31], v[24:25] neg_lo:[0,1] neg_hi:[0,1]
	v_pk_fma_f32 v[120:121], v[66:67], s[6:7], v[70:71] op_sel:[0,0,1] op_sel_hi:[1,0,0]
	v_pk_fma_f32 v[122:123], v[66:67], s[6:7], v[70:71] op_sel:[0,0,1] op_sel_hi:[1,0,0] neg_lo:[0,0,1] neg_hi:[0,0,1]
	v_mov_b32_e32 v70, v120
	v_mov_b32_e32 v71, v123
	v_pk_add_f32 v[36:37], v[70:71], v[36:37]
	v_pk_add_f32 v[70:71], v[24:25], v[30:31]
	v_pk_mul_f32 v[126:127], v[72:73], s[34:35] op_sel_hi:[1,0]
	s_mov_b32 s40, 0x3eb8f4ab
	v_pk_fma_f32 v[134:135], v[70:71], s[28:29], v[126:127] op_sel:[0,0,1] op_sel_hi:[1,0,0] neg_lo:[0,0,1] neg_hi:[0,0,1]
	v_pk_fma_f32 v[136:137], v[70:71], s[28:29], v[126:127] op_sel:[0,0,1] op_sel_hi:[1,0,0]
	v_mov_b32_e32 v127, v135
	v_mov_b32_e32 v126, v136
	v_pk_mul_f32 v[128:129], v[72:73], s[40:41] op_sel_hi:[1,0]
	v_pk_add_f32 v[38:39], v[126:127], v[38:39]
	v_pk_fma_f32 v[126:127], v[70:71], s[12:13], v[128:129] op_sel:[0,0,1] op_sel_hi:[1,0,0]
	v_pk_fma_f32 v[128:129], v[70:71], s[12:13], v[128:129] op_sel:[0,0,1] op_sel_hi:[1,0,0] neg_lo:[0,0,1] neg_hi:[0,0,1]
	v_mov_b32_e32 v146, v126
	v_mov_b32_e32 v147, v129
	s_movk_i32 s2, 0x50
	v_pk_add_f32 v[36:37], v[146:147], v[36:37]
	v_cmp_gt_u32_e32 vcc, s2, v34
	s_barrier
	s_and_saveexec_b64 s[2:3], vcc
	s_cbranch_execz .LBB0_12
; %bb.11:
	v_pk_add_f32 v[4:5], v[40:41], v[4:5]
	v_mov_b32_e32 v75, v77
	v_pk_add_f32 v[4:5], v[4:5], v[6:7]
	v_mov_b32_e32 v79, v81
	;; [unrolled: 2-line block ×7, first 2 shown]
	v_pk_add_f32 v[4:5], v[4:5], v[30:31]
	v_mul_u32_u24_e32 v6, 0x88, v34
	v_pk_add_f32 v[4:5], v[4:5], v[24:25]
	v_mov_b32_e32 v135, v137
	v_pk_add_f32 v[4:5], v[4:5], v[26:27]
	v_mov_b32_e32 v83, v95
	v_pk_add_f32 v[4:5], v[4:5], v[16:17]
	v_add3_u32 v146, 0, v6, v141
	v_pk_add_f32 v[4:5], v[4:5], v[18:19]
	v_mov_b32_e32 v89, v99
	v_pk_add_f32 v[4:5], v[4:5], v[8:9]
	v_mov_b32_e32 v97, v119
	;; [unrolled: 2-line block ×4, first 2 shown]
	v_pk_add_f32 v[0:1], v[0:1], v[2:3]
	v_pk_add_f32 v[2:3], v[40:41], v[74:75]
	v_mov_b32_e32 v113, v111
	v_pk_add_f32 v[2:3], v[78:79], v[2:3]
	v_mov_b32_e32 v123, v121
	;; [unrolled: 2-line block ×3, first 2 shown]
	v_pk_add_f32 v[2:3], v[90:91], v[2:3]
	v_pk_mul_f32 v[6:7], v[50:51], s[22:23] op_sel_hi:[1,0]
	v_pk_add_f32 v[2:3], v[102:103], v[2:3]
	s_mov_b32 s46, 0x3e3c28d5
	v_pk_add_f32 v[2:3], v[114:115], v[2:3]
	v_pk_mul_f32 v[10:11], v[52:53], s[46:47] op_sel_hi:[1,0]
	v_pk_add_f32 v[2:3], v[130:131], v[2:3]
	v_pk_mul_f32 v[14:15], v[56:57], s[44:45] op_sel_hi:[1,0]
	v_pk_add_f32 v[2:3], v[134:135], v[2:3]
	ds_write2_b64 v146, v[0:1], v[2:3] offset1:1
	v_pk_add_f32 v[0:1], v[40:41], v[82:83]
	v_pk_mul_f32 v[2:3], v[48:49], s[42:43] op_sel_hi:[1,0]
	v_pk_add_f32 v[0:1], v[88:89], v[0:1]
	s_mov_b32 s46, 0x3f2c7751
	v_pk_add_f32 v[0:1], v[96:97], v[0:1]
	v_pk_mul_f32 v[18:19], v[60:61], s[46:47] op_sel_hi:[1,0]
	v_pk_add_f32 v[0:1], v[100:101], v[0:1]
	v_pk_mul_f32 v[22:23], v[64:65], s[16:17] op_sel_hi:[1,0]
	;; [unrolled: 2-line block ×5, first 2 shown]
	v_pk_add_f32 v[74:75], v[128:129], v[0:1]
	v_pk_fma_f32 v[0:1], v[42:43], s[6:7], v[2:3] op_sel:[0,0,1] op_sel_hi:[1,0,0] neg_lo:[0,0,1] neg_hi:[0,0,1]
	v_pk_fma_f32 v[2:3], v[42:43], s[6:7], v[2:3] op_sel:[0,0,1] op_sel_hi:[1,0,0]
	v_mov_b32_e32 v4, v0
	v_mov_b32_e32 v5, v3
	v_pk_add_f32 v[8:9], v[40:41], v[4:5]
	v_pk_fma_f32 v[4:5], v[44:45], s[20:21], v[6:7] op_sel:[0,0,1] op_sel_hi:[1,0,0] neg_lo:[0,0,1] neg_hi:[0,0,1]
	v_pk_fma_f32 v[6:7], v[44:45], s[20:21], v[6:7] op_sel:[0,0,1] op_sel_hi:[1,0,0]
	v_mov_b32_e32 v12, v4
	v_mov_b32_e32 v13, v7
	;; [unrolled: 5-line block ×8, first 2 shown]
	v_pk_add_f32 v[76:77], v[78:79], v[76:77]
	ds_write2_b64 v146, v[74:75], v[76:77] offset0:2 offset1:3
	v_pk_mul_f32 v[76:77], v[48:49], s[24:25] op_sel_hi:[1,0]
	v_pk_mul_f32 v[84:85], v[52:53], s[44:45] op_sel_hi:[1,0]
	v_pk_fma_f32 v[74:75], v[42:43], s[8:9], v[76:77] op_sel:[0,0,1] op_sel_hi:[1,0,0] neg_lo:[0,0,1] neg_hi:[0,0,1]
	v_pk_fma_f32 v[76:77], v[42:43], s[8:9], v[76:77] op_sel:[0,0,1] op_sel_hi:[1,0,0]
	v_mov_b32_e32 v78, v74
	v_mov_b32_e32 v79, v77
	v_pk_add_f32 v[82:83], v[40:41], v[78:79]
	v_pk_fma_f32 v[78:79], v[44:45], s[28:29], v[80:81] op_sel:[0,0,1] op_sel_hi:[1,0,0] neg_lo:[0,0,1] neg_hi:[0,0,1]
	v_pk_fma_f32 v[80:81], v[44:45], s[28:29], v[80:81] op_sel:[0,0,1] op_sel_hi:[1,0,0]
	v_mov_b32_e32 v86, v78
	v_mov_b32_e32 v87, v81
	v_pk_add_f32 v[86:87], v[86:87], v[82:83]
	v_pk_fma_f32 v[82:83], v[46:47], s[14:15], v[84:85] op_sel:[0,0,1] op_sel_hi:[1,0,0] neg_lo:[0,0,1] neg_hi:[0,0,1]
	v_pk_fma_f32 v[84:85], v[46:47], s[14:15], v[84:85] op_sel:[0,0,1] op_sel_hi:[1,0,0]
	v_pk_mul_f32 v[88:89], v[56:57], s[40:41] op_sel_hi:[1,0]
	v_mov_b32_e32 v90, v82
	v_mov_b32_e32 v91, v85
	v_pk_add_f32 v[90:91], v[90:91], v[86:87]
	v_pk_fma_f32 v[86:87], v[54:55], s[12:13], v[88:89] op_sel:[0,0,1] op_sel_hi:[1,0,0] neg_lo:[0,0,1] neg_hi:[0,0,1]
	v_pk_fma_f32 v[88:89], v[54:55], s[12:13], v[88:89] op_sel:[0,0,1] op_sel_hi:[1,0,0]
	v_pk_mul_f32 v[92:93], v[60:61], s[42:43] op_sel_hi:[1,0]
	;; [unrolled: 6-line block ×3, first 2 shown]
	v_mov_b32_e32 v98, v90
	v_mov_b32_e32 v99, v93
	s_mov_b32 s50, 0x3f4c4adb
	v_pk_add_f32 v[98:99], v[98:99], v[94:95]
	v_pk_fma_f32 v[94:95], v[62:63], s[26:27], v[96:97] op_sel:[0,0,1] op_sel_hi:[1,0,0] neg_lo:[0,0,1] neg_hi:[0,0,1]
	v_pk_fma_f32 v[96:97], v[62:63], s[26:27], v[96:97] op_sel:[0,0,1] op_sel_hi:[1,0,0]
	v_pk_mul_f32 v[100:101], v[68:69], s[50:51] op_sel_hi:[1,0]
	v_mov_b32_e32 v102, v94
	v_mov_b32_e32 v103, v97
	v_pk_add_f32 v[102:103], v[102:103], v[98:99]
	v_pk_fma_f32 v[98:99], v[66:67], s[20:21], v[100:101] op_sel:[0,0,1] op_sel_hi:[1,0,0] neg_lo:[0,0,1] neg_hi:[0,0,1]
	v_pk_fma_f32 v[100:101], v[66:67], s[20:21], v[100:101] op_sel:[0,0,1] op_sel_hi:[1,0,0]
	v_pk_mul_f32 v[104:105], v[72:73], s[46:47] op_sel_hi:[1,0]
	v_mov_b32_e32 v106, v98
	v_mov_b32_e32 v107, v101
	v_pk_add_f32 v[106:107], v[106:107], v[102:103]
	v_pk_fma_f32 v[102:103], v[70:71], s[10:11], v[104:105] op_sel:[0,0,1] op_sel_hi:[1,0,0] neg_lo:[0,0,1] neg_hi:[0,0,1]
	v_pk_fma_f32 v[104:105], v[70:71], s[10:11], v[104:105] op_sel:[0,0,1] op_sel_hi:[1,0,0]
	v_mov_b32_e32 v108, v102
	v_mov_b32_e32 v109, v105
	v_pk_add_f32 v[148:149], v[108:109], v[106:107]
	v_pk_mul_f32 v[108:109], v[48:49], s[18:19] op_sel_hi:[1,0]
	v_pk_mul_f32 v[112:113], v[50:51], s[48:49] op_sel_hi:[1,0]
	v_pk_fma_f32 v[106:107], v[42:43], s[14:15], v[108:109] op_sel:[0,0,1] op_sel_hi:[1,0,0] neg_lo:[0,0,1] neg_hi:[0,0,1]
	v_pk_fma_f32 v[108:109], v[42:43], s[14:15], v[108:109] op_sel:[0,0,1] op_sel_hi:[1,0,0]
	v_mov_b32_e32 v110, v106
	v_mov_b32_e32 v111, v109
	v_pk_add_f32 v[114:115], v[40:41], v[110:111]
	v_pk_fma_f32 v[110:111], v[44:45], s[26:27], v[112:113] op_sel:[0,0,1] op_sel_hi:[1,0,0] neg_lo:[0,0,1] neg_hi:[0,0,1]
	v_pk_fma_f32 v[112:113], v[44:45], s[26:27], v[112:113] op_sel:[0,0,1] op_sel_hi:[1,0,0]
	v_mov_b32_e32 v116, v110
	v_mov_b32_e32 v117, v113
	v_pk_add_f32 v[118:119], v[116:117], v[114:115]
	v_pk_mul_f32 v[116:117], v[52:53], s[46:47] op_sel_hi:[1,0]
	v_pk_mul_f32 v[154:155], v[50:51], s[44:45] op_sel_hi:[1,0]
	v_pk_fma_f32 v[114:115], v[46:47], s[10:11], v[116:117] op_sel:[0,0,1] op_sel_hi:[1,0,0] neg_lo:[0,0,1] neg_hi:[0,0,1]
	v_pk_fma_f32 v[116:117], v[46:47], s[10:11], v[116:117] op_sel:[0,0,1] op_sel_hi:[1,0,0]
	v_mov_b32_e32 v120, v114
	v_mov_b32_e32 v121, v117
	v_pk_add_f32 v[122:123], v[120:121], v[118:119]
	v_pk_mul_f32 v[120:121], v[56:57], s[42:43] op_sel_hi:[1,0]
	s_mov_b32 s42, 0x3f7ee86f
	v_pk_fma_f32 v[118:119], v[54:55], s[6:7], v[120:121] op_sel:[0,0,1] op_sel_hi:[1,0,0] neg_lo:[0,0,1] neg_hi:[0,0,1]
	v_pk_fma_f32 v[120:121], v[54:55], s[6:7], v[120:121] op_sel:[0,0,1] op_sel_hi:[1,0,0]
	v_mov_b32_e32 v124, v118
	v_mov_b32_e32 v125, v121
	v_pk_add_f32 v[126:127], v[124:125], v[122:123]
	v_pk_mul_f32 v[124:125], v[60:61], s[34:35] op_sel_hi:[1,0]
	v_pk_fma_f32 v[156:157], v[44:45], s[14:15], v[154:155] op_sel:[0,0,1] op_sel_hi:[1,0,0] neg_lo:[0,0,1] neg_hi:[0,0,1]
	v_pk_fma_f32 v[122:123], v[58:59], s[28:29], v[124:125] op_sel:[0,0,1] op_sel_hi:[1,0,0] neg_lo:[0,0,1] neg_hi:[0,0,1]
	v_pk_fma_f32 v[124:125], v[58:59], s[28:29], v[124:125] op_sel:[0,0,1] op_sel_hi:[1,0,0]
	v_mov_b32_e32 v128, v122
	v_mov_b32_e32 v129, v125
	v_pk_add_f32 v[130:131], v[128:129], v[126:127]
	v_pk_mul_f32 v[128:129], v[64:65], s[42:43] op_sel_hi:[1,0]
	v_pk_fma_f32 v[154:155], v[44:45], s[14:15], v[154:155] op_sel:[0,0,1] op_sel_hi:[1,0,0]
	v_pk_fma_f32 v[126:127], v[62:63], s[8:9], v[128:129] op_sel:[0,0,1] op_sel_hi:[1,0,0] neg_lo:[0,0,1] neg_hi:[0,0,1]
	v_pk_fma_f32 v[128:129], v[62:63], s[8:9], v[128:129] op_sel:[0,0,1] op_sel_hi:[1,0,0]
	v_mov_b32_e32 v132, v126
	v_mov_b32_e32 v133, v129
	v_pk_add_f32 v[134:135], v[132:133], v[130:131]
	v_pk_mul_f32 v[132:133], v[68:69], s[16:17] op_sel_hi:[1,0]
	v_mov_b32_e32 v158, v156
	v_pk_fma_f32 v[130:131], v[66:67], s[12:13], v[132:133] op_sel:[0,0,1] op_sel_hi:[1,0,0] neg_lo:[0,0,1] neg_hi:[0,0,1]
	v_pk_fma_f32 v[132:133], v[66:67], s[12:13], v[132:133] op_sel:[0,0,1] op_sel_hi:[1,0,0]
	v_mov_b32_e32 v136, v130
	v_mov_b32_e32 v137, v133
	v_pk_add_f32 v[150:151], v[136:137], v[134:135]
	v_pk_mul_f32 v[136:137], v[72:73], s[22:23] op_sel_hi:[1,0]
	v_mov_b32_e32 v159, v155
	v_pk_fma_f32 v[134:135], v[70:71], s[20:21], v[136:137] op_sel:[0,0,1] op_sel_hi:[1,0,0] neg_lo:[0,0,1] neg_hi:[0,0,1]
	v_pk_fma_f32 v[136:137], v[70:71], s[20:21], v[136:137] op_sel:[0,0,1] op_sel_hi:[1,0,0]
	v_mov_b32_e32 v152, v134
	v_mov_b32_e32 v153, v137
	v_pk_add_f32 v[150:151], v[152:153], v[150:151]
	ds_write2_b64 v146, v[148:149], v[150:151] offset0:4 offset1:5
	v_pk_mul_f32 v[148:149], v[48:49], s[22:23] op_sel_hi:[1,0]
	v_pk_mul_f32 v[188:189], v[50:51], s[36:37] op_sel_hi:[1,0]
	v_pk_fma_f32 v[150:151], v[42:43], s[20:21], v[148:149] op_sel:[0,0,1] op_sel_hi:[1,0,0] neg_lo:[0,0,1] neg_hi:[0,0,1]
	v_pk_fma_f32 v[148:149], v[42:43], s[20:21], v[148:149] op_sel:[0,0,1] op_sel_hi:[1,0,0]
	v_mov_b32_e32 v152, v150
	v_mov_b32_e32 v153, v149
	v_pk_add_f32 v[152:153], v[40:41], v[152:153]
	v_pk_fma_f32 v[190:191], v[44:45], s[6:7], v[188:189] op_sel:[0,0,1] op_sel_hi:[1,0,0] neg_lo:[0,0,1] neg_hi:[0,0,1]
	v_pk_add_f32 v[152:153], v[158:159], v[152:153]
	v_pk_mul_f32 v[158:159], v[52:53], s[16:17] op_sel_hi:[1,0]
	v_pk_fma_f32 v[188:189], v[44:45], s[6:7], v[188:189] op_sel:[0,0,1] op_sel_hi:[1,0,0]
	v_pk_fma_f32 v[160:161], v[46:47], s[12:13], v[158:159] op_sel:[0,0,1] op_sel_hi:[1,0,0] neg_lo:[0,0,1] neg_hi:[0,0,1]
	v_pk_fma_f32 v[158:159], v[46:47], s[12:13], v[158:159] op_sel:[0,0,1] op_sel_hi:[1,0,0]
	v_mov_b32_e32 v162, v160
	v_mov_b32_e32 v163, v159
	v_pk_add_f32 v[152:153], v[162:163], v[152:153]
	v_pk_mul_f32 v[162:163], v[56:57], s[38:39] op_sel_hi:[1,0]
	v_mov_b32_e32 v192, v190
	v_pk_fma_f32 v[164:165], v[54:55], s[26:27], v[162:163] op_sel:[0,0,1] op_sel_hi:[1,0,0] neg_lo:[0,0,1] neg_hi:[0,0,1]
	v_pk_fma_f32 v[162:163], v[54:55], s[26:27], v[162:163] op_sel:[0,0,1] op_sel_hi:[1,0,0]
	v_mov_b32_e32 v166, v164
	v_mov_b32_e32 v167, v163
	v_pk_add_f32 v[152:153], v[166:167], v[152:153]
	v_pk_mul_f32 v[166:167], v[60:61], s[42:43] op_sel_hi:[1,0]
	v_mov_b32_e32 v193, v189
	;; [unrolled: 7-line block ×5, first 2 shown]
	v_pk_fma_f32 v[180:181], v[70:71], s[6:7], v[178:179] op_sel:[0,0,1] op_sel_hi:[1,0,0] neg_lo:[0,0,1] neg_hi:[0,0,1]
	v_pk_fma_f32 v[178:179], v[70:71], s[6:7], v[178:179] op_sel:[0,0,1] op_sel_hi:[1,0,0]
	v_mov_b32_e32 v182, v180
	v_mov_b32_e32 v183, v179
	v_pk_add_f32 v[152:153], v[182:183], v[152:153]
	v_pk_mul_f32 v[182:183], v[48:49], s[38:39] op_sel_hi:[1,0]
	v_pk_mul_f32 v[48:49], v[48:49], s[34:35] op_sel_hi:[1,0]
	v_pk_fma_f32 v[184:185], v[42:43], s[26:27], v[182:183] op_sel:[0,0,1] op_sel_hi:[1,0,0] neg_lo:[0,0,1] neg_hi:[0,0,1]
	v_pk_fma_f32 v[182:183], v[42:43], s[26:27], v[182:183] op_sel:[0,0,1] op_sel_hi:[1,0,0]
	v_mov_b32_e32 v186, v184
	v_mov_b32_e32 v187, v183
	v_pk_add_f32 v[186:187], v[40:41], v[186:187]
	v_mov_b32_e32 v183, v185
	v_pk_add_f32 v[186:187], v[192:193], v[186:187]
	v_pk_mul_f32 v[192:193], v[52:53], s[24:25] op_sel_hi:[1,0]
	v_pk_mul_f32 v[52:53], v[52:53], s[38:39] op_sel_hi:[1,0]
	v_pk_fma_f32 v[194:195], v[46:47], s[8:9], v[192:193] op_sel:[0,0,1] op_sel_hi:[1,0,0] neg_lo:[0,0,1] neg_hi:[0,0,1]
	v_pk_fma_f32 v[192:193], v[46:47], s[8:9], v[192:193] op_sel:[0,0,1] op_sel_hi:[1,0,0]
	v_mov_b32_e32 v196, v194
	v_mov_b32_e32 v197, v193
	v_pk_add_f32 v[186:187], v[196:197], v[186:187]
	v_pk_mul_f32 v[196:197], v[56:57], s[50:51] op_sel_hi:[1,0]
	v_mov_b32_e32 v193, v195
	v_pk_fma_f32 v[198:199], v[54:55], s[20:21], v[196:197] op_sel:[0,0,1] op_sel_hi:[1,0,0] neg_lo:[0,0,1] neg_hi:[0,0,1]
	v_pk_fma_f32 v[196:197], v[54:55], s[20:21], v[196:197] op_sel:[0,0,1] op_sel_hi:[1,0,0]
	v_mov_b32_e32 v200, v198
	v_mov_b32_e32 v201, v197
	v_pk_add_f32 v[186:187], v[200:201], v[186:187]
	v_pk_mul_f32 v[200:201], v[60:61], s[16:17] op_sel_hi:[1,0]
	v_mov_b32_e32 v159, v161
	;; [unrolled: 7-line block ×5, first 2 shown]
	v_pk_fma_f32 v[214:215], v[70:71], s[14:15], v[212:213] op_sel:[0,0,1] op_sel_hi:[1,0,0] neg_lo:[0,0,1] neg_hi:[0,0,1]
	v_pk_fma_f32 v[212:213], v[70:71], s[14:15], v[212:213] op_sel:[0,0,1] op_sel_hi:[1,0,0]
	v_mov_b32_e32 v216, v214
	v_mov_b32_e32 v217, v213
	v_pk_add_f32 v[186:187], v[216:217], v[186:187]
	ds_write2_b64 v146, v[152:153], v[186:187] offset0:6 offset1:7
	v_pk_fma_f32 v[152:153], v[42:43], s[28:29], v[48:49] op_sel:[0,0,1] op_sel_hi:[1,0,0] neg_lo:[0,0,1] neg_hi:[0,0,1]
	v_pk_fma_f32 v[42:43], v[42:43], s[28:29], v[48:49] op_sel:[0,0,1] op_sel_hi:[1,0,0]
	v_pk_mul_f32 v[48:49], v[50:51], s[40:41] op_sel_hi:[1,0]
	v_mov_b32_e32 v167, v169
	v_pk_fma_f32 v[50:51], v[44:45], s[12:13], v[48:49] op_sel:[0,0,1] op_sel_hi:[1,0,0] neg_lo:[0,0,1] neg_hi:[0,0,1]
	v_pk_fma_f32 v[44:45], v[44:45], s[12:13], v[48:49] op_sel:[0,0,1] op_sel_hi:[1,0,0]
	v_mov_b32_e32 v48, v152
	v_mov_b32_e32 v49, v43
	v_pk_add_f32 v[48:49], v[40:41], v[48:49]
	v_mov_b32_e32 v186, v50
	v_mov_b32_e32 v187, v45
	v_pk_add_f32 v[48:49], v[186:187], v[48:49]
	v_pk_fma_f32 v[186:187], v[46:47], s[26:27], v[52:53] op_sel:[0,0,1] op_sel_hi:[1,0,0] neg_lo:[0,0,1] neg_hi:[0,0,1]
	v_pk_fma_f32 v[46:47], v[46:47], s[26:27], v[52:53] op_sel:[0,0,1] op_sel_hi:[1,0,0]
	v_mov_b32_e32 v52, v186
	v_mov_b32_e32 v53, v47
	v_pk_add_f32 v[48:49], v[52:53], v[48:49]
	v_pk_mul_f32 v[52:53], v[56:57], s[46:47] op_sel_hi:[1,0]
	v_mov_b32_e32 v43, v153
	v_pk_fma_f32 v[56:57], v[54:55], s[10:11], v[52:53] op_sel:[0,0,1] op_sel_hi:[1,0,0] neg_lo:[0,0,1] neg_hi:[0,0,1]
	v_pk_fma_f32 v[52:53], v[54:55], s[10:11], v[52:53] op_sel:[0,0,1] op_sel_hi:[1,0,0]
	v_mov_b32_e32 v54, v56
	v_mov_b32_e32 v55, v53
	v_pk_add_f32 v[48:49], v[54:55], v[48:49]
	v_pk_mul_f32 v[54:55], v[60:61], s[22:23] op_sel_hi:[1,0]
	v_mov_b32_e32 v45, v51
	v_pk_fma_f32 v[60:61], v[58:59], s[20:21], v[54:55] op_sel:[0,0,1] op_sel_hi:[1,0,0] neg_lo:[0,0,1] neg_hi:[0,0,1]
	v_pk_fma_f32 v[54:55], v[58:59], s[20:21], v[54:55] op_sel:[0,0,1] op_sel_hi:[1,0,0]
	v_mov_b32_e32 v58, v60
	v_mov_b32_e32 v59, v55
	v_pk_add_f32 v[48:49], v[58:59], v[48:49]
	v_pk_mul_f32 v[58:59], v[64:65], s[36:37] op_sel_hi:[1,0]
	v_pk_add_f32 v[42:43], v[40:41], v[42:43]
	v_pk_fma_f32 v[64:65], v[62:63], s[6:7], v[58:59] op_sel:[0,0,1] op_sel_hi:[1,0,0] neg_lo:[0,0,1] neg_hi:[0,0,1]
	v_pk_fma_f32 v[58:59], v[62:63], s[6:7], v[58:59] op_sel:[0,0,1] op_sel_hi:[1,0,0]
	v_mov_b32_e32 v62, v64
	v_mov_b32_e32 v63, v59
	v_pk_add_f32 v[48:49], v[62:63], v[48:49]
	v_pk_mul_f32 v[62:63], v[68:69], s[18:19] op_sel_hi:[1,0]
	v_pk_add_f32 v[42:43], v[44:45], v[42:43]
	v_mov_b32_e32 v47, v187
	v_pk_fma_f32 v[68:69], v[66:67], s[14:15], v[62:63] op_sel:[0,0,1] op_sel_hi:[1,0,0] neg_lo:[0,0,1] neg_hi:[0,0,1]
	v_pk_fma_f32 v[62:63], v[66:67], s[14:15], v[62:63] op_sel:[0,0,1] op_sel_hi:[1,0,0]
	v_pk_add_f32 v[42:43], v[46:47], v[42:43]
	v_mov_b32_e32 v53, v57
	v_mov_b32_e32 v66, v68
	;; [unrolled: 1-line block ×3, first 2 shown]
	v_pk_add_f32 v[42:43], v[52:53], v[42:43]
	v_mov_b32_e32 v55, v61
	v_pk_add_f32 v[48:49], v[66:67], v[48:49]
	v_pk_mul_f32 v[66:67], v[72:73], s[42:43] op_sel_hi:[1,0]
	v_pk_add_f32 v[42:43], v[54:55], v[42:43]
	v_mov_b32_e32 v59, v65
	v_pk_fma_f32 v[72:73], v[70:71], s[8:9], v[66:67] op_sel:[0,0,1] op_sel_hi:[1,0,0] neg_lo:[0,0,1] neg_hi:[0,0,1]
	v_pk_fma_f32 v[66:67], v[70:71], s[8:9], v[66:67] op_sel:[0,0,1] op_sel_hi:[1,0,0]
	v_pk_add_f32 v[42:43], v[58:59], v[42:43]
	v_mov_b32_e32 v63, v69
	v_mov_b32_e32 v70, v72
	;; [unrolled: 1-line block ×3, first 2 shown]
	v_pk_add_f32 v[42:43], v[62:63], v[42:43]
	v_mov_b32_e32 v67, v73
	v_pk_add_f32 v[48:49], v[70:71], v[48:49]
	v_pk_add_f32 v[42:43], v[66:67], v[42:43]
	ds_write2_b64 v146, v[48:49], v[42:43] offset0:8 offset1:9
	v_pk_add_f32 v[42:43], v[40:41], v[182:183]
	v_pk_add_f32 v[44:45], v[40:41], v[148:149]
	;; [unrolled: 1-line block ×9, first 2 shown]
	v_mov_b32_e32 v205, v207
	v_pk_add_f32 v[44:45], v[166:167], v[44:45]
	v_mov_b32_e32 v171, v173
	v_pk_add_f32 v[42:43], v[204:205], v[42:43]
	;; [unrolled: 2-line block ×6, first 2 shown]
	v_pk_add_f32 v[44:45], v[178:179], v[44:45]
	v_mov_b32_e32 v109, v107
	v_mov_b32_e32 v77, v75
	;; [unrolled: 1-line block ×3, first 2 shown]
	ds_write2_b64 v146, v[42:43], v[44:45] offset0:10 offset1:11
	v_pk_add_f32 v[42:43], v[40:41], v[108:109]
	v_mov_b32_e32 v113, v111
	v_pk_add_f32 v[44:45], v[40:41], v[76:77]
	v_mov_b32_e32 v81, v79
	;; [unrolled: 2-line block ×21, first 2 shown]
	v_pk_add_f32 v[42:43], v[136:137], v[42:43]
	v_pk_add_f32 v[44:45], v[104:105], v[44:45]
	;; [unrolled: 1-line block ×3, first 2 shown]
	ds_write2_b64 v146, v[42:43], v[44:45] offset0:12 offset1:13
	ds_write2_b64 v146, v[0:1], v[36:37] offset0:14 offset1:15
	ds_write_b64 v146, v[38:39] offset:128
.LBB0_12:
	s_or_b64 exec, exec, s[2:3]
	v_add_u32_e32 v0, 0xc00, v140
	s_waitcnt lgkmcnt(0)
	s_barrier
	ds_read_b64 v[42:43], v138
	ds_read2_b64 v[20:23], v144 offset0:16 offset1:101
	ds_read2_b64 v[12:15], v0 offset0:58 offset1:160
	;; [unrolled: 1-line block ×3, first 2 shown]
	v_add_u32_e32 v0, 0x1c00, v140
	ds_read2_b64 v[8:11], v0 offset0:90 offset1:192
	ds_read2_b64 v[16:19], v145 offset0:117 offset1:202
	;; [unrolled: 1-line block ×4, first 2 shown]
	v_cmp_gt_u32_e32 vcc, 17, v34
                                        ; implicit-def: $vgpr30
                                        ; implicit-def: $vgpr28
                                        ; implicit-def: $vgpr40
	s_and_saveexec_b64 s[2:3], vcc
	s_cbranch_execz .LBB0_14
; %bb.13:
	ds_read_b64 v[36:37], v140 offset:2040
	ds_read_b64 v[38:39], v140 offset:4216
	;; [unrolled: 1-line block ×5, first 2 shown]
.LBB0_14:
	s_or_b64 exec, exec, s[2:3]
	s_movk_i32 s3, 0xf1
	v_mul_lo_u16_sdwa v44, v34, s3 dst_sel:DWORD dst_unused:UNUSED_PAD src0_sel:BYTE_0 src1_sel:DWORD
	v_lshrrev_b16_e32 v60, 12, v44
	v_add_u16_e32 v44, 0x55, v34
	v_mul_lo_u16_sdwa v45, v44, s3 dst_sel:DWORD dst_unused:UNUSED_PAD src0_sel:BYTE_0 src1_sel:DWORD
	v_lshrrev_b16_e32 v62, 12, v45
	v_mul_lo_u16_e32 v45, 17, v62
	v_mov_b32_e32 v61, 5
	v_sub_u16_e32 v63, v44, v45
	v_lshlrev_b32_sdwa v52, v61, v63 dst_sel:DWORD dst_unused:UNUSED_PAD src0_sel:DWORD src1_sel:BYTE_0
	global_load_dwordx4 v[44:47], v52, s[4:5] offset:16
	global_load_dwordx4 v[48:51], v52, s[4:5]
	v_mul_lo_u16_e32 v52, 17, v60
	v_sub_u16_e32 v64, v34, v52
	v_lshlrev_b32_sdwa v65, v61, v64 dst_sel:DWORD dst_unused:UNUSED_PAD src0_sel:DWORD src1_sel:BYTE_0
	global_load_dwordx4 v[52:55], v65, s[4:5]
	global_load_dwordx4 v[56:59], v65, s[4:5] offset:16
	v_add_u16_e32 v65, 0xaa, v34
	v_mul_lo_u16_sdwa v66, v65, s3 dst_sel:DWORD dst_unused:UNUSED_PAD src0_sel:BYTE_0 src1_sel:DWORD
	v_lshrrev_b16_e32 v86, 12, v66
	v_mul_lo_u16_e32 v66, 17, v86
	v_sub_u16_e32 v87, v65, v66
	s_movk_i32 s7, 0x2a8
	v_mov_b32_e32 v75, 3
	v_lshlrev_b32_sdwa v70, v61, v87 dst_sel:DWORD dst_unused:UNUSED_PAD src0_sel:DWORD src1_sel:BYTE_0
	v_mad_u32_u24 v68, v60, s7, 0
	v_mad_u32_u24 v69, v62, s7, 0
	v_lshlrev_b32_sdwa v71, v75, v64 dst_sel:DWORD dst_unused:UNUSED_PAD src0_sel:DWORD src1_sel:BYTE_0
	v_lshlrev_b32_sdwa v72, v75, v63 dst_sel:DWORD dst_unused:UNUSED_PAD src0_sel:DWORD src1_sel:BYTE_0
	global_load_dwordx4 v[60:63], v70, s[4:5] offset:16
	global_load_dwordx4 v[64:67], v70, s[4:5]
	v_add3_u32 v88, v68, v71, v141
	v_add3_u32 v89, v69, v72, v141
	s_mov_b32 s6, 0x3f737871
	s_mov_b32 s8, 0x3f167918
	;; [unrolled: 1-line block ×3, first 2 shown]
	s_waitcnt lgkmcnt(0)
	s_barrier
	s_waitcnt vmcnt(5)
	v_pk_mul_f32 v[72:73], v[44:45], v[26:27] op_sel:[0,1]
	s_waitcnt vmcnt(4)
	v_pk_mul_f32 v[68:69], v[48:49], v[22:23] op_sel:[0,1]
	v_pk_mul_f32 v[70:71], v[50:51], v[16:17] op_sel:[0,1]
	v_pk_fma_f32 v[84:85], v[48:49], v[22:23], v[68:69] op_sel:[0,0,1] op_sel_hi:[1,1,0] neg_lo:[0,0,1] neg_hi:[0,0,1]
	s_waitcnt vmcnt(3)
	v_pk_mul_f32 v[76:77], v[52:53], v[20:21] op_sel:[0,1]
	v_pk_mul_f32 v[78:79], v[54:55], v[14:15] op_sel:[0,1]
	s_waitcnt vmcnt(2)
	v_pk_mul_f32 v[80:81], v[56:57], v[24:25] op_sel:[0,1]
	v_pk_mul_f32 v[82:83], v[58:59], v[10:11] op_sel:[0,1]
	v_pk_fma_f32 v[22:23], v[48:49], v[22:23], v[68:69] op_sel:[0,0,1] op_sel_hi:[1,0,0]
	v_pk_fma_f32 v[68:69], v[52:53], v[20:21], v[76:77] op_sel:[0,0,1] op_sel_hi:[1,1,0] neg_lo:[0,0,1] neg_hi:[0,0,1]
	v_pk_fma_f32 v[20:21], v[52:53], v[20:21], v[76:77] op_sel:[0,0,1] op_sel_hi:[1,0,0]
	v_pk_fma_f32 v[52:53], v[54:55], v[14:15], v[78:79] op_sel:[0,0,1] op_sel_hi:[1,1,0] neg_lo:[0,0,1] neg_hi:[0,0,1]
	;; [unrolled: 2-line block ×4, first 2 shown]
	v_pk_fma_f32 v[10:11], v[58:59], v[10:11], v[82:83] op_sel:[0,0,1] op_sel_hi:[1,0,0]
	v_mov_b32_e32 v74, v47
	v_mov_b32_e32 v69, v21
	;; [unrolled: 1-line block ×5, first 2 shown]
	v_pk_fma_f32 v[48:49], v[50:51], v[16:17], v[70:71] op_sel:[0,0,1] op_sel_hi:[1,1,0] neg_lo:[0,0,1] neg_hi:[0,0,1]
	v_pk_fma_f32 v[16:17], v[50:51], v[16:17], v[70:71] op_sel:[0,0,1] op_sel_hi:[1,0,0]
	v_pk_fma_f32 v[50:51], v[44:45], v[26:27], v[72:73] op_sel:[0,0,1] op_sel_hi:[1,1,0] neg_lo:[0,0,1] neg_hi:[0,0,1]
	v_pk_fma_f32 v[26:27], v[44:45], v[26:27], v[72:73] op_sel:[0,0,1] op_sel_hi:[1,0,0]
	v_pk_mul_f32 v[44:45], v[4:5], v[74:75] op_sel_hi:[1,0]
	v_pk_add_f32 v[14:15], v[52:53], v[54:55]
	v_pk_add_f32 v[20:21], v[68:69], v[56:57] neg_lo:[0,1] neg_hi:[0,1]
	v_mov_b32_e32 v85, v23
	v_mov_b32_e32 v49, v17
	;; [unrolled: 1-line block ×3, first 2 shown]
	v_pk_fma_f32 v[16:17], v[4:5], v[46:47], v[44:45] op_sel:[0,0,1] op_sel_hi:[1,1,0] neg_lo:[0,0,1] neg_hi:[0,0,1]
	v_pk_fma_f32 v[4:5], v[4:5], v[46:47], v[44:45] op_sel:[0,0,1] op_sel_hi:[1,0,0]
	v_pk_add_f32 v[22:23], v[52:53], v[54:55] neg_lo:[0,1] neg_hi:[0,1]
	v_pk_add_f32 v[24:25], v[68:69], v[52:53] neg_lo:[0,1] neg_hi:[0,1]
	v_pk_add_f32 v[26:27], v[56:57], v[54:55] neg_lo:[0,1] neg_hi:[0,1]
	v_pk_fma_f32 v[14:15], v[14:15], 0.5, v[42:43] op_sel_hi:[1,0,1] neg_lo:[1,0,0] neg_hi:[1,0,0]
	v_pk_mul_f32 v[44:45], v[20:21], s[6:7] op_sel_hi:[1,0]
	v_pk_add_f32 v[10:11], v[42:43], v[68:69]
	v_pk_mul_f32 v[46:47], v[22:23], s[8:9] op_sel_hi:[1,0]
	v_pk_add_f32 v[24:25], v[24:25], v[26:27]
	v_pk_add_f32 v[26:27], v[14:15], v[44:45] op_sel:[0,1] op_sel_hi:[1,0]
	v_pk_add_f32 v[14:15], v[14:15], v[44:45] op_sel:[0,1] op_sel_hi:[1,0] neg_lo:[0,1] neg_hi:[0,1]
	v_pk_add_f32 v[10:11], v[10:11], v[52:53]
	v_pk_add_f32 v[14:15], v[14:15], v[46:47] op_sel:[0,1] op_sel_hi:[1,0] neg_lo:[0,1] neg_hi:[0,1]
	v_pk_add_f32 v[26:27], v[26:27], v[46:47] op_sel:[0,1] op_sel_hi:[1,0]
	v_pk_add_f32 v[10:11], v[10:11], v[54:55]
	v_mov_b32_e32 v44, v26
	v_mov_b32_e32 v45, v15
	v_pk_add_f32 v[10:11], v[10:11], v[56:57]
	v_pk_fma_f32 v[44:45], v[24:25], s[2:3], v[44:45] op_sel_hi:[1,0,1]
	ds_write2_b64 v88, v[10:11], v[44:45] offset1:17
	v_pk_add_f32 v[10:11], v[68:69], v[56:57]
	v_pk_add_f32 v[44:45], v[54:55], v[56:57] neg_lo:[0,1] neg_hi:[0,1]
	v_pk_fma_f32 v[10:11], v[10:11], 0.5, v[42:43] op_sel_hi:[1,0,1] neg_lo:[1,0,0] neg_hi:[1,0,0]
	v_pk_add_f32 v[42:43], v[52:53], v[68:69] neg_lo:[0,1] neg_hi:[0,1]
	v_pk_mul_f32 v[22:23], v[22:23], s[6:7] op_sel_hi:[1,0]
	v_pk_add_f32 v[42:43], v[42:43], v[44:45]
	v_pk_mul_f32 v[20:21], v[20:21], s[8:9] op_sel_hi:[1,0]
	v_pk_add_f32 v[44:45], v[10:11], v[22:23] op_sel:[0,1] op_sel_hi:[1,0] neg_lo:[0,1] neg_hi:[0,1]
	v_pk_add_f32 v[10:11], v[10:11], v[22:23] op_sel:[0,1] op_sel_hi:[1,0]
	v_mov_b32_e32 v15, v27
	v_pk_add_f32 v[10:11], v[10:11], v[20:21] op_sel:[0,1] op_sel_hi:[1,0] neg_lo:[0,1] neg_hi:[0,1]
	v_pk_add_f32 v[20:21], v[44:45], v[20:21] op_sel:[0,1] op_sel_hi:[1,0]
	v_mov_b32_e32 v23, v11
	v_mov_b32_e32 v22, v20
	;; [unrolled: 1-line block ×3, first 2 shown]
	v_pk_fma_f32 v[22:23], v[42:43], s[2:3], v[22:23] op_sel_hi:[1,0,1]
	v_pk_fma_f32 v[10:11], v[42:43], s[2:3], v[10:11] op_sel_hi:[1,0,1]
	v_mov_b32_e32 v17, v5
	ds_write2_b64 v88, v[22:23], v[10:11] offset0:34 offset1:51
	v_pk_fma_f32 v[10:11], v[24:25], s[2:3], v[14:15] op_sel_hi:[1,0,1]
	ds_write_b64 v88, v[10:11] offset:544
	v_pk_add_f32 v[10:11], v[48:49], v[50:51]
	v_pk_add_f32 v[14:15], v[84:85], v[16:17] neg_lo:[0,1] neg_hi:[0,1]
	v_pk_fma_f32 v[10:11], v[10:11], 0.5, v[0:1] op_sel_hi:[1,0,1] neg_lo:[1,0,0] neg_hi:[1,0,0]
	v_pk_mul_f32 v[20:21], v[14:15], s[6:7] op_sel_hi:[1,0]
	v_pk_add_f32 v[22:23], v[48:49], v[50:51] neg_lo:[0,1] neg_hi:[0,1]
	v_pk_add_f32 v[26:27], v[84:85], v[48:49] neg_lo:[0,1] neg_hi:[0,1]
	;; [unrolled: 1-line block ×3, first 2 shown]
	v_pk_add_f32 v[4:5], v[0:1], v[84:85]
	v_pk_mul_f32 v[24:25], v[22:23], s[8:9] op_sel_hi:[1,0]
	v_pk_add_f32 v[26:27], v[26:27], v[42:43]
	v_pk_add_f32 v[42:43], v[10:11], v[20:21] op_sel:[0,1] op_sel_hi:[1,0]
	v_pk_add_f32 v[10:11], v[10:11], v[20:21] op_sel:[0,1] op_sel_hi:[1,0] neg_lo:[0,1] neg_hi:[0,1]
	v_pk_add_f32 v[4:5], v[4:5], v[48:49]
	v_pk_add_f32 v[10:11], v[10:11], v[24:25] op_sel:[0,1] op_sel_hi:[1,0] neg_lo:[0,1] neg_hi:[0,1]
	v_pk_add_f32 v[20:21], v[42:43], v[24:25] op_sel:[0,1] op_sel_hi:[1,0]
	v_pk_add_f32 v[4:5], v[4:5], v[50:51]
	v_mov_b32_e32 v24, v20
	v_mov_b32_e32 v25, v11
	v_pk_add_f32 v[4:5], v[4:5], v[16:17]
	v_pk_fma_f32 v[24:25], v[26:27], s[2:3], v[24:25] op_sel_hi:[1,0,1]
	ds_write2_b64 v89, v[4:5], v[24:25] offset1:17
	v_pk_add_f32 v[4:5], v[84:85], v[16:17]
	v_pk_add_f32 v[16:17], v[50:51], v[16:17] neg_lo:[0,1] neg_hi:[0,1]
	v_pk_fma_f32 v[0:1], v[4:5], 0.5, v[0:1] op_sel_hi:[1,0,1] neg_lo:[1,0,0] neg_hi:[1,0,0]
	v_pk_add_f32 v[4:5], v[48:49], v[84:85] neg_lo:[0,1] neg_hi:[0,1]
	v_pk_mul_f32 v[14:15], v[14:15], s[8:9] op_sel_hi:[1,0]
	v_pk_add_f32 v[4:5], v[4:5], v[16:17]
	v_pk_mul_f32 v[16:17], v[22:23], s[6:7] op_sel_hi:[1,0]
	v_mov_b32_e32 v11, v21
	v_pk_add_f32 v[22:23], v[0:1], v[16:17] op_sel:[0,1] op_sel_hi:[1,0] neg_lo:[0,1] neg_hi:[0,1]
	v_pk_add_f32 v[0:1], v[0:1], v[16:17] op_sel:[0,1] op_sel_hi:[1,0]
	s_nop 0
	v_pk_add_f32 v[0:1], v[0:1], v[14:15] op_sel:[0,1] op_sel_hi:[1,0] neg_lo:[0,1] neg_hi:[0,1]
	v_pk_add_f32 v[14:15], v[22:23], v[14:15] op_sel:[0,1] op_sel_hi:[1,0]
	v_mov_b32_e32 v17, v1
	v_mov_b32_e32 v16, v14
	;; [unrolled: 1-line block ×3, first 2 shown]
	v_pk_fma_f32 v[16:17], v[4:5], s[2:3], v[16:17] op_sel_hi:[1,0,1]
	v_pk_fma_f32 v[0:1], v[4:5], s[2:3], v[0:1] op_sel_hi:[1,0,1]
	ds_write2_b64 v89, v[16:17], v[0:1] offset0:34 offset1:51
	v_pk_fma_f32 v[0:1], v[26:27], s[2:3], v[10:11] op_sel_hi:[1,0,1]
	ds_write_b64 v89, v[0:1] offset:544
	v_mad_u32_u24 v0, v86, s7, 0
	v_lshlrev_b32_sdwa v1, v75, v87 dst_sel:DWORD dst_unused:UNUSED_PAD src0_sel:DWORD src1_sel:BYTE_0
	v_add3_u32 v26, v0, v1, v141
	s_waitcnt vmcnt(0)
	v_pk_mul_f32 v[0:1], v[12:13], v[64:65] op_sel:[0,1]
	s_nop 0
	v_pk_fma_f32 v[4:5], v[12:13], v[64:65], v[0:1] op_sel:[0,0,1] op_sel_hi:[1,1,0] neg_lo:[0,0,1] neg_hi:[0,0,1]
	v_pk_fma_f32 v[0:1], v[12:13], v[64:65], v[0:1] op_sel:[0,0,1] op_sel_hi:[1,0,0]
	s_nop 0
	v_mov_b32_e32 v0, v67
	v_mov_b32_e32 v5, v1
	v_pk_mul_f32 v[0:1], v[18:19], v[0:1] op_sel_hi:[1,0]
	s_nop 0
	v_pk_fma_f32 v[10:11], v[18:19], v[66:67], v[0:1] op_sel:[0,0,1] op_sel_hi:[1,1,0] neg_lo:[0,0,1] neg_hi:[0,0,1]
	v_pk_fma_f32 v[0:1], v[18:19], v[66:67], v[0:1] op_sel:[0,0,1] op_sel_hi:[1,0,0]
	s_nop 0
	v_mov_b32_e32 v11, v1
	v_pk_mul_f32 v[0:1], v[8:9], v[60:61] op_sel:[0,1]
	v_pk_add_f32 v[22:23], v[4:5], v[10:11] neg_lo:[0,1] neg_hi:[0,1]
	v_pk_fma_f32 v[12:13], v[8:9], v[60:61], v[0:1] op_sel:[0,0,1] op_sel_hi:[1,1,0] neg_lo:[0,0,1] neg_hi:[0,0,1]
	v_pk_fma_f32 v[0:1], v[8:9], v[60:61], v[0:1] op_sel:[0,0,1] op_sel_hi:[1,0,0]
	s_nop 0
	v_mov_b32_e32 v0, v63
	v_mov_b32_e32 v13, v1
	v_pk_mul_f32 v[0:1], v[6:7], v[0:1] op_sel_hi:[1,0]
	v_pk_add_f32 v[18:19], v[10:11], v[12:13] neg_lo:[0,1] neg_hi:[0,1]
	v_pk_fma_f32 v[8:9], v[6:7], v[62:63], v[0:1] op_sel:[0,0,1] op_sel_hi:[1,1,0] neg_lo:[0,0,1] neg_hi:[0,0,1]
	v_pk_fma_f32 v[0:1], v[6:7], v[62:63], v[0:1] op_sel:[0,0,1] op_sel_hi:[1,0,0]
	v_pk_add_f32 v[6:7], v[10:11], v[12:13]
	v_mov_b32_e32 v9, v1
	v_pk_add_f32 v[14:15], v[4:5], v[8:9] neg_lo:[0,1] neg_hi:[0,1]
	v_pk_fma_f32 v[6:7], v[6:7], 0.5, v[2:3] op_sel_hi:[1,0,1] neg_lo:[1,0,0] neg_hi:[1,0,0]
	v_pk_mul_f32 v[16:17], v[14:15], s[6:7] op_sel_hi:[1,0]
	v_pk_add_f32 v[24:25], v[8:9], v[12:13] neg_lo:[0,1] neg_hi:[0,1]
	v_pk_add_f32 v[0:1], v[2:3], v[4:5]
	v_pk_mul_f32 v[20:21], v[18:19], s[8:9] op_sel_hi:[1,0]
	v_pk_add_f32 v[22:23], v[22:23], v[24:25]
	v_pk_add_f32 v[24:25], v[6:7], v[16:17] op_sel:[0,1] op_sel_hi:[1,0]
	v_pk_add_f32 v[6:7], v[6:7], v[16:17] op_sel:[0,1] op_sel_hi:[1,0] neg_lo:[0,1] neg_hi:[0,1]
	v_pk_add_f32 v[0:1], v[0:1], v[10:11]
	v_pk_add_f32 v[6:7], v[6:7], v[20:21] op_sel:[0,1] op_sel_hi:[1,0] neg_lo:[0,1] neg_hi:[0,1]
	v_pk_add_f32 v[16:17], v[24:25], v[20:21] op_sel:[0,1] op_sel_hi:[1,0]
	v_pk_add_f32 v[0:1], v[0:1], v[12:13]
	v_mov_b32_e32 v20, v16
	v_mov_b32_e32 v21, v7
	v_pk_add_f32 v[0:1], v[0:1], v[8:9]
	v_pk_fma_f32 v[20:21], v[22:23], s[2:3], v[20:21] op_sel_hi:[1,0,1]
	ds_write2_b64 v26, v[0:1], v[20:21] offset1:17
	v_pk_add_f32 v[0:1], v[4:5], v[8:9]
	v_mov_b32_e32 v7, v17
	v_pk_fma_f32 v[0:1], v[0:1], 0.5, v[2:3] op_sel_hi:[1,0,1] neg_lo:[1,0,0] neg_hi:[1,0,0]
	v_pk_add_f32 v[2:3], v[10:11], v[4:5] neg_lo:[0,1] neg_hi:[0,1]
	v_pk_add_f32 v[4:5], v[12:13], v[8:9] neg_lo:[0,1] neg_hi:[0,1]
	v_pk_mul_f32 v[8:9], v[14:15], s[8:9] op_sel_hi:[1,0]
	v_pk_add_f32 v[2:3], v[2:3], v[4:5]
	v_pk_mul_f32 v[4:5], v[18:19], s[6:7] op_sel_hi:[1,0]
	s_nop 0
	v_pk_add_f32 v[10:11], v[0:1], v[4:5] op_sel:[0,1] op_sel_hi:[1,0] neg_lo:[0,1] neg_hi:[0,1]
	v_pk_add_f32 v[0:1], v[0:1], v[4:5] op_sel:[0,1] op_sel_hi:[1,0]
	v_pk_add_f32 v[4:5], v[10:11], v[8:9] op_sel:[0,1] op_sel_hi:[1,0]
	v_pk_add_f32 v[0:1], v[0:1], v[8:9] op_sel:[0,1] op_sel_hi:[1,0] neg_lo:[0,1] neg_hi:[0,1]
	v_mov_b32_e32 v8, v4
	v_mov_b32_e32 v9, v1
	;; [unrolled: 1-line block ×3, first 2 shown]
	v_pk_fma_f32 v[8:9], v[2:3], s[2:3], v[8:9] op_sel_hi:[1,0,1]
	v_pk_fma_f32 v[0:1], v[2:3], s[2:3], v[0:1] op_sel_hi:[1,0,1]
	ds_write2_b64 v26, v[8:9], v[0:1] offset0:34 offset1:51
	v_pk_fma_f32 v[0:1], v[22:23], s[2:3], v[6:7] op_sel_hi:[1,0,1]
	ds_write_b64 v26, v[0:1] offset:544
	s_and_saveexec_b64 s[10:11], vcc
	s_cbranch_execz .LBB0_16
; %bb.15:
	v_add_u32_e32 v0, 0xff, v34
	s_mov_b32 s3, 0xf0f1
	v_mul_u32_u24_sdwa v1, v0, s3 dst_sel:DWORD dst_unused:UNUSED_PAD src0_sel:WORD_0 src1_sel:DWORD
	v_lshrrev_b32_e32 v1, 20, v1
	v_mul_lo_u16_e32 v1, 17, v1
	v_sub_u16_e32 v9, v0, v1
	v_lshlrev_b32_e32 v8, 5, v9
	global_load_dwordx4 v[0:3], v8, s[4:5]
	global_load_dwordx4 v[4:7], v8, s[4:5] offset:16
	v_lshlrev_b32_e32 v9, 3, v9
	v_mov_b32_e32 v8, v41
	v_mov_b32_e32 v10, v29
	;; [unrolled: 1-line block ×3, first 2 shown]
	v_add3_u32 v26, 0, v9, v141
	v_add_u32_e32 v29, 0x2800, v26
	v_add_u32_e32 v27, 0x2400, v26
	s_waitcnt vmcnt(1)
	v_pk_mul_f32 v[8:9], v[8:9], v[2:3] op_sel_hi:[0,1]
	v_pk_mul_f32 v[14:15], v[38:39], v[0:1] op_sel:[1,0]
	s_waitcnt vmcnt(0)
	v_pk_mul_f32 v[10:11], v[10:11], v[4:5] op_sel_hi:[0,1]
	v_pk_mul_f32 v[12:13], v[12:13], v[6:7] op_sel_hi:[0,1]
	v_pk_fma_f32 v[16:17], v[38:39], v[0:1], v[14:15] op_sel:[0,0,1] op_sel_hi:[1,1,0] neg_lo:[0,0,1] neg_hi:[0,0,1]
	v_pk_fma_f32 v[0:1], v[38:39], v[0:1], v[14:15] op_sel:[0,0,1] op_sel_hi:[0,1,0]
	v_pk_fma_f32 v[14:15], v[40:41], v[2:3], v[8:9] op_sel:[0,0,1] op_sel_hi:[1,1,0] neg_lo:[0,0,1] neg_hi:[0,0,1]
	v_pk_fma_f32 v[2:3], v[40:41], v[2:3], v[8:9] op_sel:[0,0,1] op_sel_hi:[0,1,0]
	;; [unrolled: 2-line block ×4, first 2 shown]
	v_mov_b32_e32 v17, v1
	v_mov_b32_e32 v15, v3
	;; [unrolled: 1-line block ×4, first 2 shown]
	v_pk_add_f32 v[0:1], v[36:37], v[16:17]
	v_pk_add_f32 v[2:3], v[16:17], v[8:9] neg_lo:[0,1] neg_hi:[0,1]
	v_pk_add_f32 v[6:7], v[14:15], v[12:13]
	v_pk_add_f32 v[4:5], v[14:15], v[12:13] neg_lo:[0,1] neg_hi:[0,1]
	v_pk_add_f32 v[10:11], v[16:17], v[14:15] neg_lo:[0,1] neg_hi:[0,1]
	;; [unrolled: 1-line block ×3, first 2 shown]
	v_pk_add_f32 v[16:17], v[16:17], v[8:9]
	v_pk_add_f32 v[0:1], v[0:1], v[14:15]
	v_pk_fma_f32 v[6:7], v[6:7], 0.5, v[36:37] op_sel_hi:[1,0,1] neg_lo:[1,0,0] neg_hi:[1,0,0]
	v_pk_mul_f32 v[14:15], v[2:3], s[6:7] op_sel_hi:[1,0]
	v_pk_add_f32 v[18:19], v[8:9], v[12:13] neg_lo:[0,1] neg_hi:[0,1]
	v_pk_add_f32 v[22:23], v[12:13], v[8:9] neg_lo:[0,1] neg_hi:[0,1]
	v_pk_mul_f32 v[24:25], v[4:5], s[8:9] op_sel_hi:[1,0]
	v_pk_fma_f32 v[16:17], v[16:17], 0.5, v[36:37] op_sel_hi:[1,0,1] neg_lo:[1,0,0] neg_hi:[1,0,0]
	v_pk_mul_f32 v[4:5], v[4:5], s[6:7] op_sel_hi:[1,0]
	v_pk_add_f32 v[0:1], v[0:1], v[12:13]
	v_pk_add_f32 v[12:13], v[6:7], v[14:15] op_sel:[0,1] op_sel_hi:[1,0]
	v_pk_add_f32 v[6:7], v[6:7], v[14:15] op_sel:[0,1] op_sel_hi:[1,0] neg_lo:[0,1] neg_hi:[0,1]
	v_pk_mul_f32 v[2:3], v[2:3], s[8:9] op_sel_hi:[1,0]
	v_pk_add_f32 v[14:15], v[16:17], v[4:5] op_sel:[0,1] op_sel_hi:[1,0] neg_lo:[0,1] neg_hi:[0,1]
	v_pk_add_f32 v[4:5], v[16:17], v[4:5] op_sel:[0,1] op_sel_hi:[1,0]
	v_pk_add_f32 v[0:1], v[0:1], v[8:9]
	v_pk_add_f32 v[6:7], v[6:7], v[24:25] op_sel:[0,1] op_sel_hi:[1,0] neg_lo:[0,1] neg_hi:[0,1]
	v_pk_add_f32 v[8:9], v[12:13], v[24:25] op_sel:[0,1] op_sel_hi:[1,0]
	v_pk_add_f32 v[10:11], v[10:11], v[18:19]
	v_pk_add_f32 v[4:5], v[4:5], v[2:3] op_sel:[0,1] op_sel_hi:[1,0] neg_lo:[0,1] neg_hi:[0,1]
	v_pk_add_f32 v[2:3], v[14:15], v[2:3] op_sel:[0,1] op_sel_hi:[1,0]
	v_mov_b32_e32 v12, v8
	v_mov_b32_e32 v13, v7
	v_pk_add_f32 v[18:19], v[20:21], v[22:23]
	v_mov_b32_e32 v14, v2
	v_mov_b32_e32 v15, v5
	;; [unrolled: 1-line block ×4, first 2 shown]
	v_pk_fma_f32 v[2:3], v[10:11], s[2:3], v[12:13] op_sel_hi:[1,0,1]
	v_pk_fma_f32 v[8:9], v[18:19], s[2:3], v[14:15] op_sel_hi:[1,0,1]
	;; [unrolled: 1-line block ×4, first 2 shown]
	ds_write2_b64 v27, v[0:1], v[2:3] offset0:123 offset1:140
	ds_write2_b64 v29, v[8:9], v[4:5] offset0:29 offset1:46
	ds_write_b64 v26, v[6:7] offset:10744
.LBB0_16:
	s_or_b64 exec, exec, s[10:11]
	v_mul_u32_u24_e32 v0, 15, v34
	v_lshlrev_b32_e32 v28, 3, v0
	s_waitcnt lgkmcnt(0)
	s_barrier
	global_load_dwordx4 v[0:3], v28, s[4:5] offset:544
	global_load_dwordx4 v[4:7], v28, s[4:5] offset:560
	global_load_dwordx4 v[8:11], v28, s[4:5] offset:576
	global_load_dwordx4 v[12:15], v28, s[4:5] offset:592
	global_load_dwordx4 v[16:19], v28, s[4:5] offset:608
	global_load_dwordx4 v[20:23], v28, s[4:5] offset:624
	global_load_dwordx4 v[24:27], v28, s[4:5] offset:640
	global_load_dwordx2 v[60:61], v28, s[4:5] offset:656
	ds_read2_b64 v[28:31], v140 offset0:85 offset1:170
	v_add_u32_e32 v36, 0x400, v140
	v_add_u32_e32 v48, 0x1400, v140
	;; [unrolled: 1-line block ×6, first 2 shown]
	ds_read_b64 v[62:63], v138
	ds_read_b64 v[64:65], v140 offset:10200
	ds_read2_b64 v[36:39], v36 offset0:127 offset1:212
	ds_read2_b64 v[40:43], v77 offset0:169 offset1:254
	;; [unrolled: 1-line block ×6, first 2 shown]
	s_mov_b32 s2, 0x3f3504f3
	s_mov_b32 s6, 0x3f6c835e
	;; [unrolled: 1-line block ×3, first 2 shown]
	s_waitcnt lgkmcnt(0)
	s_barrier
	v_cmp_ne_u32_e32 vcc, 0, v34
	s_waitcnt vmcnt(7)
	v_pk_mul_f32 v[66:67], v[0:1], v[28:29] op_sel:[0,1]
	v_pk_mul_f32 v[68:69], v[2:3], v[30:31] op_sel:[0,1]
	s_waitcnt vmcnt(6)
	v_pk_mul_f32 v[70:71], v[4:5], v[36:37] op_sel:[0,1]
	v_mov_b32_e32 v72, v7
	s_waitcnt vmcnt(5)
	v_pk_mul_f32 v[74:75], v[40:41], v[8:9] op_sel:[0,1]
	v_mov_b32_e32 v76, v11
	v_pk_fma_f32 v[94:95], v[0:1], v[28:29], v[66:67] op_sel:[0,0,1] op_sel_hi:[1,1,0] neg_lo:[0,0,1] neg_hi:[0,0,1]
	v_pk_fma_f32 v[0:1], v[0:1], v[28:29], v[66:67] op_sel:[0,0,1] op_sel_hi:[1,0,0]
	v_pk_fma_f32 v[28:29], v[2:3], v[30:31], v[68:69] op_sel:[0,0,1] op_sel_hi:[1,1,0] neg_lo:[0,0,1] neg_hi:[0,0,1]
	v_pk_fma_f32 v[2:3], v[2:3], v[30:31], v[68:69] op_sel:[0,0,1] op_sel_hi:[1,0,0]
	;; [unrolled: 2-line block ×3, first 2 shown]
	v_pk_mul_f32 v[36:37], v[38:39], v[72:73] op_sel_hi:[1,0]
	s_waitcnt vmcnt(1)
	v_mov_b32_e32 v92, v27
	v_pk_fma_f32 v[66:67], v[40:41], v[8:9], v[74:75] op_sel:[0,0,1] op_sel_hi:[1,1,0] neg_lo:[0,0,1] neg_hi:[0,0,1]
	v_pk_fma_f32 v[8:9], v[40:41], v[8:9], v[74:75] op_sel:[0,0,1] op_sel_hi:[1,0,0]
	v_pk_mul_f32 v[40:41], v[42:43], v[76:77] op_sel_hi:[1,0]
	v_mov_b32_e32 v95, v1
	v_mov_b32_e32 v29, v3
	v_pk_fma_f32 v[0:1], v[38:39], v[6:7], v[36:37] op_sel:[0,0,1] op_sel_hi:[1,1,0] neg_lo:[0,0,1] neg_hi:[0,0,1]
	v_pk_fma_f32 v[2:3], v[38:39], v[6:7], v[36:37] op_sel:[0,0,1] op_sel_hi:[1,0,0]
	v_pk_mul_f32 v[78:79], v[44:45], v[12:13] op_sel:[0,1]
	v_mov_b32_e32 v80, v15
	v_pk_mul_f32 v[82:83], v[48:49], v[16:17] op_sel:[0,1]
	v_mov_b32_e32 v84, v19
	;; [unrolled: 2-line block ×3, first 2 shown]
	v_mov_b32_e32 v31, v5
	v_pk_fma_f32 v[4:5], v[42:43], v[10:11], v[40:41] op_sel:[0,0,1] op_sel_hi:[1,1,0] neg_lo:[0,0,1] neg_hi:[0,0,1]
	v_pk_fma_f32 v[6:7], v[42:43], v[10:11], v[40:41] op_sel:[0,0,1] op_sel_hi:[1,0,0]
	v_mov_b32_e32 v1, v3
	v_pk_mul_f32 v[2:3], v[58:59], v[92:93] op_sel_hi:[1,0]
	v_pk_fma_f32 v[68:69], v[44:45], v[12:13], v[78:79] op_sel:[0,0,1] op_sel_hi:[1,1,0] neg_lo:[0,0,1] neg_hi:[0,0,1]
	v_pk_fma_f32 v[12:13], v[44:45], v[12:13], v[78:79] op_sel:[0,0,1] op_sel_hi:[1,0,0]
	v_pk_mul_f32 v[44:45], v[46:47], v[80:81] op_sel_hi:[1,0]
	v_pk_fma_f32 v[70:71], v[48:49], v[16:17], v[82:83] op_sel:[0,0,1] op_sel_hi:[1,1,0] neg_lo:[0,0,1] neg_hi:[0,0,1]
	v_pk_fma_f32 v[16:17], v[48:49], v[16:17], v[82:83] op_sel:[0,0,1] op_sel_hi:[1,0,0]
	;; [unrolled: 3-line block ×3, first 2 shown]
	v_pk_mul_f32 v[52:53], v[54:55], v[88:89] op_sel_hi:[1,0]
	v_mov_b32_e32 v5, v7
	v_pk_fma_f32 v[6:7], v[58:59], v[26:27], v[2:3] op_sel:[0,0,1] op_sel_hi:[1,1,0] neg_lo:[0,0,1] neg_hi:[0,0,1]
	v_pk_fma_f32 v[2:3], v[58:59], v[26:27], v[2:3] op_sel:[0,0,1] op_sel_hi:[1,0,0]
	v_mov_b32_e32 v67, v9
	v_mov_b32_e32 v69, v13
	v_pk_fma_f32 v[8:9], v[46:47], v[14:15], v[44:45] op_sel:[0,0,1] op_sel_hi:[1,1,0] neg_lo:[0,0,1] neg_hi:[0,0,1]
	v_pk_fma_f32 v[10:11], v[46:47], v[14:15], v[44:45] op_sel:[0,0,1] op_sel_hi:[1,0,0]
	v_mov_b32_e32 v71, v17
	v_pk_fma_f32 v[12:13], v[50:51], v[18:19], v[48:49] op_sel:[0,0,1] op_sel_hi:[1,1,0] neg_lo:[0,0,1] neg_hi:[0,0,1]
	v_pk_fma_f32 v[14:15], v[50:51], v[18:19], v[48:49] op_sel:[0,0,1] op_sel_hi:[1,0,0]
	v_pk_fma_f32 v[16:17], v[54:55], v[22:23], v[52:53] op_sel:[0,0,1] op_sel_hi:[1,1,0] neg_lo:[0,0,1] neg_hi:[0,0,1]
	v_pk_fma_f32 v[18:19], v[54:55], v[22:23], v[52:53] op_sel:[0,0,1] op_sel_hi:[1,0,0]
	v_mov_b32_e32 v7, v3
	s_waitcnt vmcnt(0)
	v_pk_mul_f32 v[2:3], v[64:65], v[60:61] op_sel:[0,1]
	v_mov_b32_e32 v9, v11
	v_mov_b32_e32 v17, v19
	v_pk_fma_f32 v[10:11], v[64:65], v[60:61], v[2:3] op_sel:[0,0,1] op_sel_hi:[1,1,0] neg_lo:[0,0,1] neg_hi:[0,0,1]
	v_pk_fma_f32 v[2:3], v[64:65], v[60:61], v[2:3] op_sel:[0,0,1] op_sel_hi:[1,0,0]
	v_pk_mul_f32 v[90:91], v[56:57], v[24:25] op_sel:[0,1]
	v_mov_b32_e32 v13, v15
	v_mov_b32_e32 v11, v3
	v_pk_add_f32 v[2:3], v[62:63], v[8:9] neg_lo:[0,1] neg_hi:[0,1]
	v_pk_add_f32 v[14:15], v[0:1], v[16:17] neg_lo:[0,1] neg_hi:[0,1]
	v_pk_fma_f32 v[74:75], v[56:57], v[24:25], v[90:91] op_sel:[0,0,1] op_sel_hi:[1,1,0] neg_lo:[0,0,1] neg_hi:[0,0,1]
	v_pk_fma_f32 v[24:25], v[56:57], v[24:25], v[90:91] op_sel:[0,0,1] op_sel_hi:[1,0,0]
	v_pk_fma_f32 v[0:1], v[0:1], 2.0, v[14:15] op_sel_hi:[1,0,1] neg_lo:[0,0,1] neg_hi:[0,0,1]
	v_pk_add_f32 v[12:13], v[28:29], v[12:13] neg_lo:[0,1] neg_hi:[0,1]
	v_pk_add_f32 v[6:7], v[4:5], v[6:7] neg_lo:[0,1] neg_hi:[0,1]
	v_pk_add_f32 v[36:37], v[2:3], v[14:15] op_sel:[0,1] op_sel_hi:[1,0] neg_lo:[0,1] neg_hi:[0,1]
	v_pk_add_f32 v[14:15], v[2:3], v[14:15] op_sel:[0,1] op_sel_hi:[1,0]
	v_mov_b32_e32 v75, v25
	v_pk_fma_f32 v[4:5], v[4:5], 2.0, v[6:7] op_sel_hi:[1,0,1] neg_lo:[0,0,1] neg_hi:[0,0,1]
	v_mov_b32_e32 v37, v15
	v_pk_add_f32 v[14:15], v[12:13], v[6:7] op_sel:[0,1] op_sel_hi:[1,0] neg_lo:[0,1] neg_hi:[0,1]
	v_pk_add_f32 v[6:7], v[12:13], v[6:7] op_sel:[0,1] op_sel_hi:[1,0]
	v_mov_b32_e32 v73, v21
	v_pk_add_f32 v[18:19], v[94:95], v[70:71] neg_lo:[0,1] neg_hi:[0,1]
	v_pk_add_f32 v[22:23], v[66:67], v[74:75] neg_lo:[0,1] neg_hi:[0,1]
	v_mov_b32_e32 v15, v7
	v_pk_fma_f32 v[16:17], v[28:29], 2.0, v[12:13] op_sel_hi:[1,0,1] neg_lo:[0,0,1] neg_hi:[0,0,1]
	v_pk_fma_f32 v[24:25], v[66:67], 2.0, v[22:23] op_sel_hi:[1,0,1] neg_lo:[0,0,1] neg_hi:[0,0,1]
	v_pk_add_f32 v[26:27], v[30:31], v[72:73] neg_lo:[0,1] neg_hi:[0,1]
	v_pk_add_f32 v[10:11], v[68:69], v[10:11] neg_lo:[0,1] neg_hi:[0,1]
	v_pk_fma_f32 v[6:7], v[12:13], 2.0, v[14:15] op_sel_hi:[1,0,1] neg_lo:[0,0,1] neg_hi:[0,0,1]
	v_pk_add_f32 v[12:13], v[18:19], v[22:23] op_sel:[0,1] op_sel_hi:[1,0] neg_lo:[0,1] neg_hi:[0,1]
	v_pk_add_f32 v[22:23], v[18:19], v[22:23] op_sel:[0,1] op_sel_hi:[1,0]
	v_pk_fma_f32 v[28:29], v[30:31], 2.0, v[26:27] op_sel_hi:[1,0,1] neg_lo:[0,0,1] neg_hi:[0,0,1]
	v_pk_fma_f32 v[30:31], v[68:69], 2.0, v[10:11] op_sel_hi:[1,0,1] neg_lo:[0,0,1] neg_hi:[0,0,1]
	v_mov_b32_e32 v13, v23
	v_pk_add_f32 v[22:23], v[26:27], v[10:11] op_sel:[0,1] op_sel_hi:[1,0] neg_lo:[0,1] neg_hi:[0,1]
	v_pk_add_f32 v[10:11], v[26:27], v[10:11] op_sel:[0,1] op_sel_hi:[1,0]
	v_pk_fma_f32 v[8:9], v[62:63], 2.0, v[2:3] op_sel_hi:[1,0,1] neg_lo:[0,0,1] neg_hi:[0,0,1]
	v_pk_fma_f32 v[2:3], v[2:3], 2.0, v[36:37] op_sel_hi:[1,0,1] neg_lo:[0,0,1] neg_hi:[0,0,1]
	v_mov_b32_e32 v23, v11
	v_pk_fma_f32 v[20:21], v[94:95], 2.0, v[18:19] op_sel_hi:[1,0,1] neg_lo:[0,0,1] neg_hi:[0,0,1]
	v_pk_fma_f32 v[18:19], v[18:19], 2.0, v[12:13] op_sel_hi:[1,0,1] neg_lo:[0,0,1] neg_hi:[0,0,1]
	;; [unrolled: 1-line block ×3, first 2 shown]
	v_pk_mul_f32 v[26:27], v[6:7], s[2:3] op_sel_hi:[1,0]
	v_pk_fma_f32 v[6:7], v[6:7], s[2:3], v[2:3] op_sel_hi:[1,0,1] neg_lo:[1,0,0] neg_hi:[1,0,0]
	v_pk_add_f32 v[0:1], v[8:9], v[0:1] neg_lo:[0,1] neg_hi:[0,1]
	v_pk_add_f32 v[38:39], v[6:7], v[26:27] op_sel:[0,1] op_sel_hi:[1,0] neg_lo:[0,1] neg_hi:[0,1]
	v_pk_add_f32 v[6:7], v[6:7], v[26:27] op_sel:[0,1] op_sel_hi:[1,0]
	v_pk_mul_f32 v[26:27], v[10:11], s[2:3] op_sel_hi:[1,0]
	v_pk_fma_f32 v[10:11], v[10:11], s[2:3], v[18:19] op_sel_hi:[1,0,1] neg_lo:[1,0,0] neg_hi:[1,0,0]
	v_pk_add_f32 v[4:5], v[16:17], v[4:5] neg_lo:[0,1] neg_hi:[0,1]
	v_pk_add_f32 v[40:41], v[10:11], v[26:27] op_sel:[0,1] op_sel_hi:[1,0] neg_lo:[0,1] neg_hi:[0,1]
	v_pk_add_f32 v[10:11], v[10:11], v[26:27] op_sel:[0,1] op_sel_hi:[1,0]
	v_pk_add_f32 v[24:25], v[20:21], v[24:25] neg_lo:[0,1] neg_hi:[0,1]
	v_pk_add_f32 v[30:31], v[28:29], v[30:31] neg_lo:[0,1] neg_hi:[0,1]
	v_mov_b32_e32 v39, v7
	v_mov_b32_e32 v41, v11
	v_pk_fma_f32 v[8:9], v[8:9], 2.0, v[0:1] op_sel_hi:[1,0,1] neg_lo:[0,0,1] neg_hi:[0,0,1]
	v_pk_fma_f32 v[16:17], v[16:17], 2.0, v[4:5] op_sel_hi:[1,0,1] neg_lo:[0,0,1] neg_hi:[0,0,1]
	;; [unrolled: 1-line block ×6, first 2 shown]
	v_pk_add_f32 v[16:17], v[8:9], v[16:17] neg_lo:[0,1] neg_hi:[0,1]
	v_pk_add_f32 v[28:29], v[20:21], v[28:29] neg_lo:[0,1] neg_hi:[0,1]
	v_pk_fma_f32 v[26:27], v[18:19], s[6:7], v[2:3] op_sel_hi:[1,0,1] neg_lo:[1,0,0] neg_hi:[1,0,0]
	v_pk_mul_f32 v[18:19], v[18:19], s[8:9] op_sel_hi:[1,0]
	v_pk_fma_f32 v[8:9], v[8:9], 2.0, v[16:17] op_sel_hi:[1,0,1] neg_lo:[0,0,1] neg_hi:[0,0,1]
	v_pk_fma_f32 v[20:21], v[20:21], 2.0, v[28:29] op_sel_hi:[1,0,1] neg_lo:[0,0,1] neg_hi:[0,0,1]
	v_pk_add_f32 v[42:43], v[26:27], v[18:19] op_sel:[0,1] op_sel_hi:[1,0] neg_lo:[0,1] neg_hi:[0,1]
	v_pk_add_f32 v[18:19], v[26:27], v[18:19] op_sel:[0,1] op_sel_hi:[1,0]
	v_pk_add_f32 v[20:21], v[8:9], v[20:21] neg_lo:[0,1] neg_hi:[0,1]
	v_mov_b32_e32 v43, v19
	v_pk_fma_f32 v[8:9], v[8:9], 2.0, v[20:21] op_sel_hi:[1,0,1] neg_lo:[0,0,1] neg_hi:[0,0,1]
	v_pk_fma_f32 v[2:3], v[2:3], 2.0, v[42:43] op_sel_hi:[1,0,1] neg_lo:[0,0,1] neg_hi:[0,0,1]
	ds_write2_b64 v140, v[8:9], v[2:3] offset1:85
	v_pk_add_f32 v[2:3], v[0:1], v[4:5] op_sel:[0,1] op_sel_hi:[1,0] neg_lo:[0,1] neg_hi:[0,1]
	v_pk_add_f32 v[4:5], v[0:1], v[4:5] op_sel:[0,1] op_sel_hi:[1,0]
	v_pk_add_f32 v[8:9], v[24:25], v[30:31] op_sel:[0,1] op_sel_hi:[1,0]
	v_mov_b32_e32 v3, v5
	v_pk_add_f32 v[4:5], v[24:25], v[30:31] op_sel:[0,1] op_sel_hi:[1,0] neg_lo:[0,1] neg_hi:[0,1]
	v_fmamk_f32 v6, v40, 0x3ec3ef15, v38
	v_mov_b32_e32 v5, v9
	v_pk_fma_f32 v[0:1], v[0:1], 2.0, v[2:3] op_sel_hi:[1,0,1] neg_lo:[0,0,1] neg_hi:[0,0,1]
	v_pk_fma_f32 v[8:9], v[24:25], 2.0, v[4:5] op_sel_hi:[1,0,1] neg_lo:[0,0,1] neg_hi:[0,0,1]
	v_fmamk_f32 v19, v11, 0x3ec3ef15, v7
	v_fmamk_f32 v18, v11, 0xbf6c835e, v6
	v_pk_mul_f32 v[10:11], v[8:9], s[2:3] op_sel_hi:[1,0]
	v_pk_fma_f32 v[8:9], v[8:9], s[2:3], v[0:1] op_sel_hi:[1,0,1] neg_lo:[1,0,0] neg_hi:[1,0,0]
	v_pk_mul_f32 v[26:27], v[22:23], s[2:3] op_sel_hi:[1,0]
	v_pk_add_f32 v[24:25], v[8:9], v[10:11] op_sel:[0,1] op_sel_hi:[1,0] neg_lo:[0,1] neg_hi:[0,1]
	v_pk_add_f32 v[8:9], v[8:9], v[10:11] op_sel:[0,1] op_sel_hi:[1,0]
	v_pk_fma_f32 v[10:11], v[14:15], s[2:3], v[36:37] op_sel_hi:[1,0,1]
	v_mov_b32_e32 v25, v9
	v_pk_mul_f32 v[8:9], v[14:15], s[2:3] op_sel_hi:[1,0]
	v_pk_fma_f32 v[22:23], v[22:23], s[2:3], v[12:13] op_sel_hi:[1,0,1]
	v_pk_add_f32 v[14:15], v[10:11], v[8:9] op_sel:[0,1] op_sel_hi:[1,0] neg_lo:[0,1] neg_hi:[0,1]
	v_pk_add_f32 v[8:9], v[10:11], v[8:9] op_sel:[0,1] op_sel_hi:[1,0]
	v_pk_add_f32 v[30:31], v[22:23], v[26:27] op_sel:[0,1] op_sel_hi:[1,0] neg_lo:[0,1] neg_hi:[0,1]
	v_pk_add_f32 v[22:23], v[22:23], v[26:27] op_sel:[0,1] op_sel_hi:[1,0]
	v_mov_b32_e32 v15, v9
	v_mov_b32_e32 v31, v23
	v_pk_fma_f32 v[10:11], v[36:37], 2.0, v[14:15] op_sel_hi:[1,0,1] neg_lo:[0,0,1] neg_hi:[0,0,1]
	v_pk_fma_f32 v[12:13], v[12:13], 2.0, v[30:31] op_sel_hi:[1,0,1] neg_lo:[0,0,1] neg_hi:[0,0,1]
	;; [unrolled: 1-line block ×3, first 2 shown]
	v_pk_fma_f32 v[26:27], v[12:13], s[8:9], v[10:11] op_sel_hi:[1,0,1] neg_lo:[1,0,0] neg_hi:[1,0,0]
	v_pk_mul_f32 v[12:13], v[12:13], s[6:7] op_sel_hi:[1,0]
	v_fmac_f32_e32 v19, 0x3f6c835e, v40
	v_pk_add_f32 v[36:37], v[26:27], v[12:13] op_sel:[0,1] op_sel_hi:[1,0] neg_lo:[0,1] neg_hi:[0,1]
	v_pk_add_f32 v[12:13], v[26:27], v[12:13] op_sel:[0,1] op_sel_hi:[1,0]
	v_fma_f32 v6, v38, 2.0, -v18
	v_mov_b32_e32 v37, v13
	v_pk_fma_f32 v[10:11], v[10:11], 2.0, v[36:37] op_sel_hi:[1,0,1] neg_lo:[0,0,1] neg_hi:[0,0,1]
	ds_write2_b64 v140, v[0:1], v[10:11] offset0:170 offset1:255
	v_pk_add_f32 v[0:1], v[16:17], v[28:29] op_sel:[0,1] op_sel_hi:[1,0] neg_lo:[0,1] neg_hi:[0,1]
	v_pk_add_f32 v[10:11], v[16:17], v[28:29] op_sel:[0,1] op_sel_hi:[1,0]
	v_fma_f32 v7, v7, 2.0, -v19
	v_mov_b32_e32 v1, v11
	v_pk_fma_f32 v[10:11], v[16:17], 2.0, v[0:1] op_sel_hi:[1,0,1] neg_lo:[0,0,1] neg_hi:[0,0,1]
	ds_write2_b64 v77, v[10:11], v[6:7] offset0:84 offset1:169
	v_pk_mul_f32 v[6:7], v[4:5], s[2:3] op_sel_hi:[1,0]
	v_pk_fma_f32 v[4:5], v[4:5], s[2:3], v[2:3] op_sel_hi:[1,0,1]
	v_fmamk_f32 v8, v30, 0x3f6c835e, v14
	v_fmamk_f32 v13, v23, 0x3f6c835e, v9
	v_pk_add_f32 v[10:11], v[4:5], v[6:7] op_sel:[0,1] op_sel_hi:[1,0] neg_lo:[0,1] neg_hi:[0,1]
	v_pk_add_f32 v[4:5], v[4:5], v[6:7] op_sel:[0,1] op_sel_hi:[1,0]
	v_fmamk_f32 v12, v23, 0xbec3ef15, v8
	v_fmac_f32_e32 v13, 0x3ec3ef15, v30
	v_mov_b32_e32 v11, v5
	v_fma_f32 v8, v14, 2.0, -v12
	v_fma_f32 v9, v9, 2.0, -v13
	v_pk_fma_f32 v[2:3], v[2:3], 2.0, v[10:11] op_sel_hi:[1,0,1] neg_lo:[0,0,1] neg_hi:[0,0,1]
	v_add_u32_e32 v4, 0xc00, v140
	ds_write2_b64 v4, v[2:3], v[8:9] offset0:126 offset1:211
	ds_write2_b64 v81, v[20:21], v[42:43] offset0:168 offset1:253
	;; [unrolled: 1-line block ×3, first 2 shown]
	v_add_u32_e32 v2, 0x1c00, v140
	ds_write2_b64 v2, v[0:1], v[18:19] offset0:124 offset1:209
	ds_write2_b64 v89, v[10:11], v[12:13] offset0:166 offset1:251
	s_waitcnt lgkmcnt(0)
	s_barrier
	ds_read_b64 v[6:7], v138
	s_add_u32 s2, s4, 0x29f8
	s_addc_u32 s3, s5, 0
	v_sub_u32_e32 v8, v35, v139
                                        ; implicit-def: $vgpr3
                                        ; implicit-def: $vgpr4_vgpr5
                                        ; implicit-def: $vgpr0_vgpr1
	s_and_saveexec_b64 s[4:5], vcc
	s_xor_b64 s[4:5], exec, s[4:5]
	s_cbranch_execz .LBB0_18
; %bb.17:
	v_mov_b32_e32 v35, 0
	v_lshl_add_u64 v[0:1], v[34:35], 3, s[2:3]
	global_load_dwordx2 v[0:1], v[0:1], off
	ds_read_b64 v[2:3], v8 offset:10880
	v_mov_b32_e32 v5, 0.5
	v_mov_b32_e32 v10, v5
	s_waitcnt lgkmcnt(0)
	v_pk_add_f32 v[12:13], v[2:3], v[6:7]
	v_pk_add_f32 v[2:3], v[6:7], v[2:3] neg_lo:[0,1] neg_hi:[0,1]
	v_mov_b32_e32 v6, v13
	v_mov_b32_e32 v7, v2
	v_pk_mul_f32 v[6:7], v[6:7], 0.5 op_sel_hi:[1,0]
	s_waitcnt vmcnt(0)
	v_mov_b32_e32 v4, v1
	v_mov_b32_e32 v2, v7
	;; [unrolled: 1-line block ×4, first 2 shown]
	v_pk_mul_f32 v[2:3], v[4:5], v[2:3]
	v_pk_mul_f32 v[14:15], v[0:1], v[6:7] op_sel_hi:[0,1]
	v_pk_fma_f32 v[16:17], v[12:13], v[10:11], v[2:3]
	v_pk_fma_f32 v[4:5], v[12:13], v[10:11], v[2:3] neg_lo:[0,0,1] neg_hi:[0,0,1]
	v_pk_fma_f32 v[2:3], v[0:1], v[6:7], v[16:17] op_sel_hi:[0,1,1] neg_lo:[1,0,0] neg_hi:[1,0,0]
	v_pk_fma_f32 v[4:5], v[0:1], v[6:7], v[4:5] op_sel_hi:[0,1,1] neg_lo:[1,0,0] neg_hi:[1,0,0]
	v_add_f32_e32 v2, v16, v14
	v_mov_b64_e32 v[0:1], v[34:35]
                                        ; implicit-def: $vgpr6_vgpr7
                                        ; implicit-def: $vgpr35
.LBB0_18:
	s_andn2_saveexec_b64 s[4:5], s[4:5]
	s_cbranch_execz .LBB0_20
; %bb.19:
	ds_read_b32 v1, v35 offset:5444
	s_waitcnt lgkmcnt(1)
	v_mov_b32_e32 v0, v7
	v_add_f32_e32 v2, v7, v6
	s_waitcnt lgkmcnt(0)
	v_pk_add_f32 v[4:5], v[6:7], v[0:1] neg_lo:[0,1] neg_hi:[0,1]
	s_nop 0
	v_mov_b32_e32 v5, 0
	v_xor_b32_e32 v0, 0x80000000, v1
	ds_write_b32 v35, v0 offset:5444
	v_mov_b64_e32 v[0:1], 0
	v_mov_b32_e32 v3, v5
.LBB0_20:
	s_or_b64 exec, exec, s[4:5]
	s_waitcnt lgkmcnt(0)
	v_lshl_add_u64 v[6:7], v[0:1], 3, s[2:3]
	global_load_dwordx2 v[10:11], v[6:7], off offset:680
	global_load_dwordx2 v[12:13], v[6:7], off offset:1360
	;; [unrolled: 1-line block ×4, first 2 shown]
	ds_write_b64 v138, v[2:3]
	ds_write_b64 v8, v[4:5] offset:10880
	ds_read_b64 v[4:5], v138 offset:680
	ds_read_b64 v[18:19], v8 offset:10200
	global_load_dwordx2 v[24:25], v[6:7], off offset:3400
	v_mov_b32_e32 v3, 0.5
	v_mov_b32_e32 v20, v3
	v_mov_b32_e32 v22, v3
	s_waitcnt lgkmcnt(0)
	v_pk_add_f32 v[26:27], v[4:5], v[18:19]
	v_pk_add_f32 v[4:5], v[4:5], v[18:19] neg_lo:[0,1] neg_hi:[0,1]
	v_mov_b32_e32 v18, v27
	v_mov_b32_e32 v19, v4
	v_pk_mul_f32 v[18:19], v[18:19], 0.5 op_sel_hi:[1,0]
	s_movk_i32 s2, 0x1000
	v_mov_b32_e32 v27, v18
	v_mov_b32_e32 v4, v19
	s_waitcnt vmcnt(4)
	v_mov_b32_e32 v21, v11
	v_mov_b32_e32 v2, v11
	v_pk_mul_f32 v[20:21], v[26:27], v[20:21]
	s_waitcnt vmcnt(3)
	v_mov_b32_e32 v23, v13
	v_pk_fma_f32 v[26:27], v[2:3], v[4:5], v[20:21] neg_lo:[1,0,0] neg_hi:[1,0,0]
	v_pk_fma_f32 v[4:5], v[2:3], v[4:5], v[20:21]
	v_pk_fma_f32 v[20:21], v[10:11], v[18:19], v[26:27] op_sel_hi:[0,1,1] neg_lo:[1,0,0] neg_hi:[1,0,0]
	v_pk_fma_f32 v[26:27], v[10:11], v[18:19], v[4:5] op_sel_hi:[0,1,1]
	v_pk_fma_f32 v[4:5], v[10:11], v[18:19], v[4:5] op_sel_hi:[0,1,1] neg_lo:[1,0,0] neg_hi:[1,0,0]
	v_mov_b32_e32 v27, v5
	ds_write_b64 v138, v[26:27] offset:680
	ds_write_b64 v8, v[20:21] offset:10200
	ds_read_b64 v[4:5], v138 offset:1360
	ds_read_b64 v[10:11], v8 offset:9520
	global_load_dwordx2 v[20:21], v[6:7], off offset:4080
	v_mov_b32_e32 v2, v13
	v_add_co_u32_e32 v6, vcc, s2, v6
	s_waitcnt lgkmcnt(0)
	v_pk_add_f32 v[26:27], v[4:5], v[10:11]
	v_pk_add_f32 v[4:5], v[4:5], v[10:11] neg_lo:[0,1] neg_hi:[0,1]
	v_mov_b32_e32 v10, v27
	v_mov_b32_e32 v11, v4
	v_pk_mul_f32 v[10:11], v[10:11], 0.5 op_sel_hi:[1,0]
	v_addc_co_u32_e32 v7, vcc, 0, v7, vcc
	v_mov_b32_e32 v27, v10
	v_mov_b32_e32 v4, v11
	v_pk_mul_f32 v[22:23], v[26:27], v[22:23]
	v_mov_b32_e32 v18, v3
	v_pk_fma_f32 v[26:27], v[2:3], v[4:5], v[22:23] neg_lo:[1,0,0] neg_hi:[1,0,0]
	v_pk_fma_f32 v[4:5], v[2:3], v[4:5], v[22:23]
	v_pk_fma_f32 v[22:23], v[12:13], v[10:11], v[26:27] op_sel_hi:[0,1,1] neg_lo:[1,0,0] neg_hi:[1,0,0]
	v_pk_fma_f32 v[26:27], v[12:13], v[10:11], v[4:5] op_sel_hi:[0,1,1]
	v_pk_fma_f32 v[4:5], v[12:13], v[10:11], v[4:5] op_sel_hi:[0,1,1] neg_lo:[1,0,0] neg_hi:[1,0,0]
	v_mov_b32_e32 v27, v5
	ds_write_b64 v138, v[26:27] offset:1360
	ds_write_b64 v8, v[22:23] offset:9520
	ds_read_b64 v[4:5], v138 offset:2040
	ds_read_b64 v[10:11], v8 offset:8840
	global_load_dwordx2 v[6:7], v[6:7], off offset:664
	s_waitcnt vmcnt(4)
	v_mov_b32_e32 v19, v15
	v_mov_b32_e32 v2, v15
	s_waitcnt lgkmcnt(0)
	v_pk_add_f32 v[12:13], v[4:5], v[10:11]
	v_pk_add_f32 v[4:5], v[4:5], v[10:11] neg_lo:[0,1] neg_hi:[0,1]
	v_mov_b32_e32 v10, v13
	v_mov_b32_e32 v11, v4
	v_pk_mul_f32 v[10:11], v[10:11], 0.5 op_sel_hi:[1,0]
	s_nop 0
	v_mov_b32_e32 v13, v10
	v_mov_b32_e32 v4, v11
	v_pk_mul_f32 v[12:13], v[12:13], v[18:19]
	s_nop 0
	v_pk_fma_f32 v[18:19], v[2:3], v[4:5], v[12:13] neg_lo:[1,0,0] neg_hi:[1,0,0]
	v_pk_fma_f32 v[4:5], v[2:3], v[4:5], v[12:13]
	v_pk_fma_f32 v[12:13], v[14:15], v[10:11], v[18:19] op_sel_hi:[0,1,1] neg_lo:[1,0,0] neg_hi:[1,0,0]
	v_pk_fma_f32 v[18:19], v[14:15], v[10:11], v[4:5] op_sel_hi:[0,1,1]
	v_pk_fma_f32 v[4:5], v[14:15], v[10:11], v[4:5] op_sel_hi:[0,1,1] neg_lo:[1,0,0] neg_hi:[1,0,0]
	v_mov_b32_e32 v19, v5
	ds_write_b64 v138, v[18:19] offset:2040
	ds_write_b64 v8, v[12:13] offset:8840
	ds_read_b64 v[4:5], v138 offset:2720
	ds_read_b64 v[10:11], v8 offset:8160
	v_mov_b32_e32 v12, v3
	s_waitcnt vmcnt(3)
	v_mov_b32_e32 v13, v17
	v_mov_b32_e32 v2, v17
	s_waitcnt lgkmcnt(0)
	v_pk_add_f32 v[14:15], v[4:5], v[10:11]
	v_pk_add_f32 v[4:5], v[4:5], v[10:11] neg_lo:[0,1] neg_hi:[0,1]
	v_mov_b32_e32 v10, v15
	v_mov_b32_e32 v11, v4
	v_pk_mul_f32 v[10:11], v[10:11], 0.5 op_sel_hi:[1,0]
	s_nop 0
	v_mov_b32_e32 v15, v10
	v_mov_b32_e32 v4, v11
	v_pk_mul_f32 v[12:13], v[14:15], v[12:13]
	s_nop 0
	v_pk_fma_f32 v[14:15], v[2:3], v[4:5], v[12:13] neg_lo:[1,0,0] neg_hi:[1,0,0]
	v_pk_fma_f32 v[4:5], v[2:3], v[4:5], v[12:13]
	v_pk_fma_f32 v[12:13], v[16:17], v[10:11], v[14:15] op_sel_hi:[0,1,1] neg_lo:[1,0,0] neg_hi:[1,0,0]
	v_pk_fma_f32 v[14:15], v[16:17], v[10:11], v[4:5] op_sel_hi:[0,1,1]
	v_pk_fma_f32 v[4:5], v[16:17], v[10:11], v[4:5] op_sel_hi:[0,1,1] neg_lo:[1,0,0] neg_hi:[1,0,0]
	v_mov_b32_e32 v15, v5
	ds_write_b64 v138, v[14:15] offset:2720
	ds_write_b64 v8, v[12:13] offset:8160
	ds_read_b64 v[4:5], v138 offset:3400
	ds_read_b64 v[10:11], v8 offset:7480
	v_mov_b32_e32 v12, v3
	;; [unrolled: 25-line block ×4, first 2 shown]
	s_waitcnt vmcnt(0)
	v_mov_b32_e32 v13, v7
	v_mov_b32_e32 v2, v7
	s_waitcnt lgkmcnt(0)
	v_pk_add_f32 v[14:15], v[4:5], v[10:11]
	v_pk_add_f32 v[4:5], v[4:5], v[10:11] neg_lo:[0,1] neg_hi:[0,1]
	v_mov_b32_e32 v10, v15
	v_mov_b32_e32 v11, v4
	v_pk_mul_f32 v[10:11], v[10:11], 0.5 op_sel_hi:[1,0]
	s_nop 0
	v_mov_b32_e32 v15, v10
	v_mov_b32_e32 v4, v11
	v_pk_mul_f32 v[12:13], v[14:15], v[12:13]
	s_nop 0
	v_pk_fma_f32 v[14:15], v[2:3], v[4:5], v[12:13] neg_lo:[1,0,0] neg_hi:[1,0,0]
	v_pk_fma_f32 v[2:3], v[2:3], v[4:5], v[12:13]
	v_pk_fma_f32 v[4:5], v[6:7], v[10:11], v[14:15] op_sel_hi:[0,1,1] neg_lo:[1,0,0] neg_hi:[1,0,0]
	v_pk_fma_f32 v[12:13], v[6:7], v[10:11], v[2:3] op_sel_hi:[0,1,1]
	v_pk_fma_f32 v[2:3], v[6:7], v[10:11], v[2:3] op_sel_hi:[0,1,1] neg_lo:[1,0,0] neg_hi:[1,0,0]
	v_mov_b32_e32 v13, v3
	ds_write_b64 v138, v[12:13] offset:4760
	ds_write_b64 v8, v[4:5] offset:6120
	s_waitcnt lgkmcnt(0)
	s_barrier
	s_and_saveexec_b64 s[4:5], s[0:1]
	s_cbranch_execz .LBB0_23
; %bb.21:
	ds_read2_b64 v[2:5], v138 offset1:85
	v_lshl_add_u64 v[14:15], v[0:1], 3, v[32:33]
	ds_read2_b64 v[6:9], v138 offset0:170 offset1:255
	v_add_u32_e32 v0, 0x800, v138
	v_add_co_u32_e32 v16, vcc, s2, v14
	s_waitcnt lgkmcnt(1)
	global_store_dwordx2 v[14:15], v[2:3], off
	global_store_dwordx2 v[14:15], v[4:5], off offset:680
	ds_read2_b64 v[0:3], v0 offset0:84 offset1:169
	v_add_u32_e32 v4, 0xc00, v138
	ds_read2_b64 v[10:13], v4 offset0:126 offset1:211
	s_waitcnt lgkmcnt(2)
	global_store_dwordx2 v[14:15], v[6:7], off offset:1360
	global_store_dwordx2 v[14:15], v[8:9], off offset:2040
	s_waitcnt lgkmcnt(1)
	global_store_dwordx2 v[14:15], v[0:1], off offset:2720
	global_store_dwordx2 v[14:15], v[2:3], off offset:3400
	s_waitcnt lgkmcnt(0)
	global_store_dwordx2 v[14:15], v[10:11], off offset:4080
	v_add_u32_e32 v0, 0x1000, v138
	ds_read2_b64 v[0:3], v0 offset0:168 offset1:253
	v_add_u32_e32 v4, 0x1800, v138
	ds_read2_b64 v[4:7], v4 offset0:82 offset1:167
	v_add_u32_e32 v8, 0x1c00, v138
	v_addc_co_u32_e32 v17, vcc, 0, v15, vcc
	ds_read2_b64 v[8:11], v8 offset0:124 offset1:209
	global_store_dwordx2 v[16:17], v[12:13], off offset:664
	s_waitcnt lgkmcnt(2)
	global_store_dwordx2 v[16:17], v[0:1], off offset:1344
	global_store_dwordx2 v[16:17], v[2:3], off offset:2024
	s_waitcnt lgkmcnt(1)
	global_store_dwordx2 v[16:17], v[4:5], off offset:2704
	;; [unrolled: 3-line block ×3, first 2 shown]
	v_add_u32_e32 v0, 0x2000, v138
	ds_read2_b64 v[0:3], v0 offset0:166 offset1:251
	v_add_co_u32_e32 v4, vcc, 0x2000, v14
	s_movk_i32 s0, 0x54
	s_nop 0
	v_addc_co_u32_e32 v5, vcc, 0, v15, vcc
	v_cmp_eq_u32_e32 vcc, s0, v34
	global_store_dwordx2 v[4:5], v[10:11], off offset:648
	s_waitcnt lgkmcnt(0)
	global_store_dwordx2 v[4:5], v[0:1], off offset:1328
	global_store_dwordx2 v[4:5], v[2:3], off offset:2008
	s_and_b64 exec, exec, vcc
	s_cbranch_execz .LBB0_23
; %bb.22:
	ds_read_b64 v[0:1], v138 offset:10208
	v_add_co_u32_e32 v2, vcc, 0x2000, v32
	s_nop 1
	v_addc_co_u32_e32 v3, vcc, 0, v33, vcc
	s_waitcnt lgkmcnt(0)
	global_store_dwordx2 v[2:3], v[0:1], off offset:2688
.LBB0_23:
	s_endpgm
	.section	.rodata,"a",@progbits
	.p2align	6, 0x0
	.amdhsa_kernel fft_rtc_fwd_len1360_factors_17_5_16_wgs_255_tpt_85_halfLds_sp_ip_CI_unitstride_sbrr_R2C_dirReg
		.amdhsa_group_segment_fixed_size 0
		.amdhsa_private_segment_fixed_size 0
		.amdhsa_kernarg_size 88
		.amdhsa_user_sgpr_count 2
		.amdhsa_user_sgpr_dispatch_ptr 0
		.amdhsa_user_sgpr_queue_ptr 0
		.amdhsa_user_sgpr_kernarg_segment_ptr 1
		.amdhsa_user_sgpr_dispatch_id 0
		.amdhsa_user_sgpr_kernarg_preload_length 0
		.amdhsa_user_sgpr_kernarg_preload_offset 0
		.amdhsa_user_sgpr_private_segment_size 0
		.amdhsa_uses_dynamic_stack 0
		.amdhsa_enable_private_segment 0
		.amdhsa_system_sgpr_workgroup_id_x 1
		.amdhsa_system_sgpr_workgroup_id_y 0
		.amdhsa_system_sgpr_workgroup_id_z 0
		.amdhsa_system_sgpr_workgroup_info 0
		.amdhsa_system_vgpr_workitem_id 0
		.amdhsa_next_free_vgpr 218
		.amdhsa_next_free_sgpr 52
		.amdhsa_accum_offset 220
		.amdhsa_reserve_vcc 1
		.amdhsa_float_round_mode_32 0
		.amdhsa_float_round_mode_16_64 0
		.amdhsa_float_denorm_mode_32 3
		.amdhsa_float_denorm_mode_16_64 3
		.amdhsa_dx10_clamp 1
		.amdhsa_ieee_mode 1
		.amdhsa_fp16_overflow 0
		.amdhsa_tg_split 0
		.amdhsa_exception_fp_ieee_invalid_op 0
		.amdhsa_exception_fp_denorm_src 0
		.amdhsa_exception_fp_ieee_div_zero 0
		.amdhsa_exception_fp_ieee_overflow 0
		.amdhsa_exception_fp_ieee_underflow 0
		.amdhsa_exception_fp_ieee_inexact 0
		.amdhsa_exception_int_div_zero 0
	.end_amdhsa_kernel
	.text
.Lfunc_end0:
	.size	fft_rtc_fwd_len1360_factors_17_5_16_wgs_255_tpt_85_halfLds_sp_ip_CI_unitstride_sbrr_R2C_dirReg, .Lfunc_end0-fft_rtc_fwd_len1360_factors_17_5_16_wgs_255_tpt_85_halfLds_sp_ip_CI_unitstride_sbrr_R2C_dirReg
                                        ; -- End function
	.section	.AMDGPU.csdata,"",@progbits
; Kernel info:
; codeLenInByte = 11348
; NumSgprs: 58
; NumVgprs: 218
; NumAgprs: 0
; TotalNumVgprs: 218
; ScratchSize: 0
; MemoryBound: 0
; FloatMode: 240
; IeeeMode: 1
; LDSByteSize: 0 bytes/workgroup (compile time only)
; SGPRBlocks: 7
; VGPRBlocks: 27
; NumSGPRsForWavesPerEU: 58
; NumVGPRsForWavesPerEU: 218
; AccumOffset: 220
; Occupancy: 2
; WaveLimiterHint : 1
; COMPUTE_PGM_RSRC2:SCRATCH_EN: 0
; COMPUTE_PGM_RSRC2:USER_SGPR: 2
; COMPUTE_PGM_RSRC2:TRAP_HANDLER: 0
; COMPUTE_PGM_RSRC2:TGID_X_EN: 1
; COMPUTE_PGM_RSRC2:TGID_Y_EN: 0
; COMPUTE_PGM_RSRC2:TGID_Z_EN: 0
; COMPUTE_PGM_RSRC2:TIDIG_COMP_CNT: 0
; COMPUTE_PGM_RSRC3_GFX90A:ACCUM_OFFSET: 54
; COMPUTE_PGM_RSRC3_GFX90A:TG_SPLIT: 0
	.text
	.p2alignl 6, 3212836864
	.fill 256, 4, 3212836864
	.type	__hip_cuid_638f88c40ba1a3e,@object ; @__hip_cuid_638f88c40ba1a3e
	.section	.bss,"aw",@nobits
	.globl	__hip_cuid_638f88c40ba1a3e
__hip_cuid_638f88c40ba1a3e:
	.byte	0                               ; 0x0
	.size	__hip_cuid_638f88c40ba1a3e, 1

	.ident	"AMD clang version 19.0.0git (https://github.com/RadeonOpenCompute/llvm-project roc-6.4.0 25133 c7fe45cf4b819c5991fe208aaa96edf142730f1d)"
	.section	".note.GNU-stack","",@progbits
	.addrsig
	.addrsig_sym __hip_cuid_638f88c40ba1a3e
	.amdgpu_metadata
---
amdhsa.kernels:
  - .agpr_count:     0
    .args:
      - .actual_access:  read_only
        .address_space:  global
        .offset:         0
        .size:           8
        .value_kind:     global_buffer
      - .offset:         8
        .size:           8
        .value_kind:     by_value
      - .actual_access:  read_only
        .address_space:  global
        .offset:         16
        .size:           8
        .value_kind:     global_buffer
      - .actual_access:  read_only
        .address_space:  global
        .offset:         24
        .size:           8
        .value_kind:     global_buffer
      - .offset:         32
        .size:           8
        .value_kind:     by_value
      - .actual_access:  read_only
        .address_space:  global
        .offset:         40
        .size:           8
        .value_kind:     global_buffer
      - .actual_access:  read_only
        .address_space:  global
        .offset:         48
        .size:           8
        .value_kind:     global_buffer
      - .offset:         56
        .size:           4
        .value_kind:     by_value
      - .actual_access:  read_only
        .address_space:  global
        .offset:         64
        .size:           8
        .value_kind:     global_buffer
      - .actual_access:  read_only
        .address_space:  global
        .offset:         72
        .size:           8
        .value_kind:     global_buffer
      - .address_space:  global
        .offset:         80
        .size:           8
        .value_kind:     global_buffer
    .group_segment_fixed_size: 0
    .kernarg_segment_align: 8
    .kernarg_segment_size: 88
    .language:       OpenCL C
    .language_version:
      - 2
      - 0
    .max_flat_workgroup_size: 255
    .name:           fft_rtc_fwd_len1360_factors_17_5_16_wgs_255_tpt_85_halfLds_sp_ip_CI_unitstride_sbrr_R2C_dirReg
    .private_segment_fixed_size: 0
    .sgpr_count:     58
    .sgpr_spill_count: 0
    .symbol:         fft_rtc_fwd_len1360_factors_17_5_16_wgs_255_tpt_85_halfLds_sp_ip_CI_unitstride_sbrr_R2C_dirReg.kd
    .uniform_work_group_size: 1
    .uses_dynamic_stack: false
    .vgpr_count:     218
    .vgpr_spill_count: 0
    .wavefront_size: 64
amdhsa.target:   amdgcn-amd-amdhsa--gfx950
amdhsa.version:
  - 1
  - 2
...

	.end_amdgpu_metadata
